;; amdgpu-corpus repo=ROCm/hipBLASLt kind=harvested arch=n/a opt=n/a

/******************************************/
/* Begin Kernel                           */
/******************************************/
.amdgcn_target "amdgcn-amd-amdhsa--gfx942"
.text
.protected CustomGSUs_Cijk_Ailk_Bljk_F8NH_HHS_BH_MT128x16x64_MI16x16x1_30_Freesize_gfx942
.globl CustomGSUs_Cijk_Ailk_Bljk_F8NH_HHS_BH_MT128x16x64_MI16x16x1_30_Freesize_gfx942
.p2align 8
.type CustomGSUs_Cijk_Ailk_Bljk_F8NH_HHS_BH_MT128x16x64_MI16x16x1_30_Freesize_gfx942,@function
.section .rodata,#alloc
.p2align 6
.amdhsa_kernel CustomGSUs_Cijk_Ailk_Bljk_F8NH_HHS_BH_MT128x16x64_MI16x16x1_30_Freesize_gfx942
  .amdhsa_user_sgpr_kernarg_segment_ptr 1
  .amdhsa_accum_offset 248 // accvgpr offset
  .amdhsa_next_free_vgpr 256 // vgprs
  .amdhsa_next_free_sgpr 77 // sgprs
  .amdhsa_group_segment_fixed_size 19456 // lds bytes
  .amdhsa_private_segment_fixed_size 0
  .amdhsa_system_sgpr_workgroup_id_x 1
  .amdhsa_system_sgpr_workgroup_id_y 1
  .amdhsa_system_sgpr_workgroup_id_z 1
  .amdhsa_system_vgpr_workitem_id 0
  .amdhsa_float_denorm_mode_32 3
  .amdhsa_float_denorm_mode_16_64 3
.end_amdhsa_kernel
.text
/* Num VGPR   =248 */
/* Num AccVGPR=8 */
/* Num SGPR   =77 */

/******************************************/
/* Optimizations and Config:              */
/******************************************/
/* ThreadTile= 8 x 1 */
/* SubGroup= 16 x 16 */
/* VectorWidthA=2 */
/* VectorWidthB=1 */
/* GlobalReadVectorWidthA=8, GlobalReadVectorWidthB=4 */
/* DirectToLdsA=False */
/* DirectToLdsB=False */
/* UseSgprForGRO=False */
.amdgpu_metadata
---
custom.config:
   InternalSupportParams:
      KernArgsVersion: 0
      SupportUserGSU: True
      SupportCustomWGM: True
      SupportCustomStaggerU: False
      UseUniversalArgs: False
amdhsa.version:
  - 1
  - 1
amdhsa.kernels:
  - .name: CustomGSUs_Cijk_Ailk_Bljk_F8NH_HHS_BH_MT128x16x64_MI16x16x1_30_Freesize_gfx942
    .symbol: 'CustomGSUs_Cijk_Ailk_Bljk_F8NH_HHS_BH_MT128x16x64_MI16x16x1_30_Freesize_gfx942.kd'
    .language:                   OpenCL C
    .language_version:
      - 2
      - 0
    .args:
      - .name:            SizesFree0
        .size:            4
        .offset:          0
        .value_kind:      by_value
        .value_type:      u32
      - .name:            SizesFree1
        .size:            4
        .offset:          4
        .value_kind:      by_value
        .value_type:      u32
      - .name:            SizesFree2
        .size:            4
        .offset:          8
        .value_kind:      by_value
        .value_type:      u32
      - .name:            SizesSum0
        .size:            4
        .offset:          12
        .value_kind:      by_value
        .value_type:      u32
      - .name:            D
        .size:            8
        .offset:          16
        .value_kind:      global_buffer
        .value_type:      f16
        .address_space:   generic
      - .name:            C
        .size:            8
        .offset:          24
        .value_kind:      global_buffer
        .value_type:      f16
        .address_space:   generic
      - .name:            A
        .size:            8
        .offset:          32
        .value_kind:      global_buffer
        .value_type:      f16
        .address_space:   generic
      - .name:            B
        .size:            8
        .offset:          40
        .value_kind:      global_buffer
        .value_type:      f16
        .address_space:   generic
      - .name:            strideD0
        .size:            4
        .offset:          48
        .value_kind:      by_value
        .value_type:      u32
      - .name:            strideD1
        .size:            4
        .offset:          52
        .value_kind:      by_value
        .value_type:      u32
      - .name:            strideC0
        .size:            4
        .offset:          56
        .value_kind:      by_value
        .value_type:      u32
      - .name:            strideC1
        .size:            4
        .offset:          60
        .value_kind:      by_value
        .value_type:      u32
      - .name:            strideA0
        .size:            4
        .offset:          64
        .value_kind:      by_value
        .value_type:      u32
      - .name:            strideA1
        .size:            4
        .offset:          68
        .value_kind:      by_value
        .value_type:      u32
      - .name:            strideB0
        .size:            4
        .offset:          72
        .value_kind:      by_value
        .value_type:      u32
      - .name:            strideB1
        .size:            4
        .offset:          76
        .value_kind:      by_value
        .value_type:      u32
      - .name:            alpha
        .size:            4
        .offset:          80
        .value_kind:      by_value
        .value_type:      f32
      - .name:            beta
        .size:            4
        .offset:          84
        .value_kind:      by_value
        .value_type:      f32
      - .name:            internalArgs
        .size:            4
        .offset:          88
        .value_kind:      by_value
        .value_type:      u32
      - .name:            dstD
        .size:            8
        .offset:          92
        .value_kind:      global_buffer
        .value_type:      f16
        .address_space:   generic
      - .name:            Synchronizer
        .size:            8
        .offset:          100
        .value_kind:      global_buffer
        .value_type:      f32
        .address_space:   generic
      - .name:            GSUSync
        .size:            4
        .offset:          108
        .value_kind:      by_value
        .value_type:      u32
    .group_segment_fixed_size:   19456
    .kernarg_segment_align:      8
    .kernarg_segment_size:       112
    .max_flat_workgroup_size:    256
    .private_segment_fixed_size: 0
    .sgpr_count:                 77
    .sgpr_spill_count:           0
    .vgpr_count:                 248
    .vgpr_spill_count:           0
    .wavefront_size:             64
...
.end_amdgpu_metadata
CustomGSUs_Cijk_Ailk_Bljk_F8NH_HHS_BH_MT128x16x64_MI16x16x1_30_Freesize_gfx942:
.long 0xC0120700, 0x00000000
.long 0xC00A0B00, 0x00000040
	;; [unrolled: 1-line block ×7, first 2 shown]
.long 0x7E700300
.long 0x260270BF
	;; [unrolled: 1-line block ×28, first 2 shown]
.long 0xBEC900FF, 0x00000080
.long 0xD2850002, 0x00020449
	;; [unrolled: 1-line block ×3, first 2 shown]
.long 0x20066C8B
.long 0x24060686
	;; [unrolled: 1-line block ×5, first 2 shown]
.long 0xD2850000, 0x00020049
.long 0xD1FE0037, 0x02060300
.long 0x20046E87
.long 0x24040485
	;; [unrolled: 1-line block ×3, first 2 shown]
.long 0x326E6EFF, 0x00004200
.long 0x260870BF
.long 0x20020884
	;; [unrolled: 1-line block ×5, first 2 shown]
.long 0xD2850001, 0x00020305
.long 0x68020304
.long 0x24000083
.long 0x7E080301
.long 0x260A70BF
.long 0x20040A84
.long 0x26060A8F
.long 0x7E920538
.long 0x8F498649
.long 0x92498449
.long 0x68040449
.long 0x24060682
.long 0x7E0A0303
.long 0x103808FF, 0x00000080
.long 0xD1FE001C, 0x02063900
.long 0x200C388B
.long 0x240C0C86
	;; [unrolled: 1-line block ×4, first 2 shown]
.long 0xD1FE001D, 0x02063B05
.long 0x200C3A87
.long 0x240C0C85
	;; [unrolled: 1-line block ×3, first 2 shown]
.long 0x323A3AFF, 0x00004200
.long 0xBF8CC07F
.long 0x8609FF32, 0x0000FF00
.long 0x8F098809
.long 0x8633FF32, 0xFFFF0000
.long 0x8F339033
.long 0x8632FF32, 0x000000FF
.long 0x7E1002FF, 0x00000080
.long 0x7E0E021C
.long 0x7E0C0D08
	;; [unrolled: 1-line block ×8, first 2 shown]
.long 0xD0CD006A, 0x00010109
.long 0xD11C6A06, 0x01A90106
.long 0x7E100290
.long 0x7E0E021D
.long 0x7E280506
.long 0x7E0C0D08
.long 0x7E0C4706
.long 0x7E120D07
.long 0x0A0C1306
.long 0x7E0C0F06
.long 0x10121106
.long 0x6A121307
.long 0xD0CD006A, 0x00010109
.long 0xD11C6A06, 0x01A90106
.long 0xBF800000
.long 0x7E2A0506
	;; [unrolled: 1-line block ×6, first 2 shown]
.long 0xD042006A, 0x00010030
.long 0xBF860001
.long 0xBE9F0080
	;; [unrolled: 1-line block ×9, first 2 shown]
.long 0xD1080007, 0x00006506
.long 0x6A0E0E03
.long 0xD0DA007E, 0x00006507
.long 0x680C0C81
.long 0x7E0E0280
	;; [unrolled: 1-line block ×18, first 2 shown]
.long 0xD1080007, 0x00001306
.long 0x6A0E0E03
.long 0xD0DA007E, 0x00001307
.long 0x680C0C81
.long 0xBEFE01C1
	;; [unrolled: 1-line block ×12, first 2 shown]
.long 0xD1080007, 0x00001306
.long 0x6A0E0E15
.long 0xD0DA007E, 0x00001307
.long 0x680C0C81
.long 0xBEFE01C1
	;; [unrolled: 1-line block ×14, first 2 shown]
.long 0xD1080007, 0x00009506
.long 0x6A0E0E4D
.long 0xD0DA007E, 0x00009507
.long 0x680C0C81
.long 0x7E0E0280
	;; [unrolled: 1-line block ×14, first 2 shown]
.long 0x9249FF02, 0x00000080
.long 0x80C9491C
.long 0x80C98849
	;; [unrolled: 1-line block ×4, first 2 shown]
.long 0xD285000D, 0x0002102C
.long 0x323C1B06
.long 0x683C3C88
.long 0xD285000D, 0x0002122C
.long 0x323E1B06
.long 0x683E3E88
	;; [unrolled: 3-line block ×5, first 2 shown]
.long 0x24444481
.long 0x964DFF02, 0x00000080
.long 0x924CFF02, 0x00000080
.long 0x964B06C0
.long 0x924A06C0
	;; [unrolled: 1-line block ×30, first 2 shown]
.long 0xBEB700FF, 0x00020000
.long 0x964D9003
.long 0x924C9003
	;; [unrolled: 1-line block ×34, first 2 shown]
.long 0xBEBB00FF, 0x00020000
.long 0x9249C032
.long 0x92452C49
.long 0x9249FF32, 0x00000080
.long 0xBEC60049
.long 0x8F0A861F
	;; [unrolled: 1-line block ×9, first 2 shown]
.long 0xD1080001, 0x00006500
.long 0x6A02020A
.long 0xD0DA007E, 0x00006501
.long 0x68000081
.long 0x7E020280
	;; [unrolled: 1-line block ×9, first 2 shown]
.long 0x864CFF33, 0x00001F00
.long 0x8F4C884C
.long 0x864DFF33, 0x0000E000
.long 0x8633FF33, 0x000000FF
.long 0xBECA0033
.long 0x8E4B4C4A
	;; [unrolled: 1-line block ×13, first 2 shown]
.long 0xBF06FF4D, 0x00002000
.long 0xBF850002
.long 0xBECA0003
.long 0xBF820011
.long 0xBF06FF4D, 0x00004000
.long 0xBF850002
.long 0xBECA00C1
.long 0xBF82000C
	;; [unrolled: 4-line block ×3, first 2 shown]
.long 0x804A024A
.long 0xBF820005
.long 0xBF06FF4D, 0x00008000
.long 0xBF850002
.long 0xBECA00C1
	;; [unrolled: 1-line block ×32, first 2 shown]
.long 0xE0541000, 0x800D261E
.long 0xE0541000, 0x800D2A1F
	;; [unrolled: 1-line block ×5, first 2 shown]
.long 0x804C810A
.long 0xBF064C40
	;; [unrolled: 1-line block ×22, first 2 shown]
.long 0xBE8E00FF, 0x80000000
.long 0xBE8F00FF, 0x00020000
.long 0xBE900022
.long 0xBE910023
.long 0xBE9200FF, 0x80000000
.long 0xBE9300FF, 0x00020000
.long 0x924C0390
.long 0x964B2A4C
	;; [unrolled: 1-line block ×42, first 2 shown]
.long 0xD3D94000, 0x18000080
.long 0xD3D94001, 0x18000080
	;; [unrolled: 1-line block ×8, first 2 shown]
.long 0xBF06800A
.long 0xBF840006
	;; [unrolled: 1-line block ×3, first 2 shown]
.long 0x814C84FF, 0x00000D34
.long 0x804A4C4A
.long 0x824B804B
	;; [unrolled: 1-line block ×4, first 2 shown]
.long 0x7E74ACF9, 0x00040626
.long 0x7E4814F9, 0x0006143A
	;; [unrolled: 1-line block ×53, first 2 shown]
.long 0xBF06810A
.long 0xBF85000A
.long 0xE0541000, 0x800D261E
.long 0xE0541000, 0x800D2A1F
	;; [unrolled: 1-line block ×5, first 2 shown]
.long 0xBF8CC07F
.long 0xBF8A0000
.long 0xD86C0000, 0x04000036
.long 0xD86C0100, 0x08000036
	;; [unrolled: 1-line block ×5, first 2 shown]
.long 0xBF06810A
.long 0xBF8501C9
	;; [unrolled: 1-line block ×5, first 2 shown]
.long 0xD1ED0000, 0x011E0908
.long 0xD1ED0001, 0x011E1910
	;; [unrolled: 1-line block ×10, first 2 shown]
.long 0xBF06400A
.long 0x854A4541
	;; [unrolled: 1-line block ×16, first 2 shown]
.long 0xD3CD8004, 0x04122902
.long 0xD86C2100, 0x06000036
	;; [unrolled: 1-line block ×9, first 2 shown]
.long 0xBF06803F
.long 0xBF8CC07F
	;; [unrolled: 1-line block ×4, first 2 shown]
.long 0xD1ED0000, 0x011E0B09
.long 0xD1ED0001, 0x011E1B11
	;; [unrolled: 1-line block ×5, first 2 shown]
.long 0x853AC13E
.long 0xBF8C0F74
.long 0x7E74ACF9, 0x00040626
.long 0x7E4814F9, 0x0006143A
.long 0x7E4814F9, 0x0006153B
.long 0x7E74ACF9, 0x00050626
.long 0x7E4A14F9, 0x0006143A
.long 0x7E4A14F9, 0x0006153B
.long 0x7E74ACF9, 0x00040627
.long 0x7E4C14F9, 0x0006143A
.long 0x7E4C14F9, 0x0006153B
.long 0x7E74ACF9, 0x00050627
.long 0x7E4E14F9, 0x0006143A
.long 0x7E4E14F9, 0x0006153B
.long 0xD9BE0000, 0x0000241C
.long 0xE0541000, 0x800D261E
.long 0xBF8C0F74
.long 0x7E74ACF9, 0x0004062A
.long 0x7E5014F9, 0x0006143A
.long 0x7E5014F9, 0x0006153B
.long 0x7E74ACF9, 0x0005062A
.long 0x7E5214F9, 0x0006143A
.long 0x7E5214F9, 0x0006153B
.long 0x7E74ACF9, 0x0004062B
.long 0x7E5414F9, 0x0006143A
.long 0x7E5414F9, 0x0006153B
.long 0x7E74ACF9, 0x0005062B
.long 0x7E5614F9, 0x0006143A
.long 0x7E5614F9, 0x0006153B
.long 0xD9BE0400, 0x0000281C
.long 0xE0541000, 0x800D2A1F
	;; [unrolled: 15-line block ×4, first 2 shown]
.long 0xBF8C0F74
.long 0xD89A0000, 0x0000341D
.long 0xE0541000, 0x800E3422
	;; [unrolled: 1-line block ×3, first 2 shown]
.long 0xBF8CC97F
.long 0xD1ED0000, 0x011E0D0A
.long 0xD1ED0001, 0x011E1D12
	;; [unrolled: 1-line block ×6, first 2 shown]
.long 0xBF8CC07F
.long 0xBF8A0000
	;; [unrolled: 1-line block ×3, first 2 shown]
.long 0xD1ED0000, 0x011E0F0B
.long 0xD1ED0001, 0x011E1F13
.long 0xD1ED0002, 0x01220F0B
.long 0xD1ED0003, 0x01221F13
.long 0xD3CD8000, 0x04023500
.long 0xD86C0000, 0x04000036
.long 0xD86C0100, 0x08000036
.long 0xD86C0200, 0x0C000036
.long 0xD86C0300, 0x10000036
.long 0xD9FE0000, 0x14000037
.long 0xD3CD8004, 0x04123502
.long 0x808A810A
.long 0xBF00820A
.long 0xBF84FF16
.long 0xBF8CC07F
.long 0xD1ED0000, 0x011E0908
.long 0xD1ED0001, 0x011E1910
	;; [unrolled: 1-line block ×10, first 2 shown]
.long 0xBF06400A
.long 0x854A4541
	;; [unrolled: 1-line block ×16, first 2 shown]
.long 0xD3CD8004, 0x04122902
.long 0xD86C2100, 0x06000036
	;; [unrolled: 1-line block ×9, first 2 shown]
.long 0xBF06803F
.long 0xBF8CC07F
.long 0xBF8A0000
.long 0xBF8CC87F
.long 0xD1ED0000, 0x011E0B09
.long 0xD1ED0001, 0x011E1B11
	;; [unrolled: 1-line block ×5, first 2 shown]
.long 0x853AC13E
.long 0xBF8C0F74
.long 0x7E74ACF9, 0x00040626
.long 0x7E4814F9, 0x0006143A
.long 0x7E4814F9, 0x0006153B
.long 0x7E74ACF9, 0x00050626
.long 0x7E4A14F9, 0x0006143A
.long 0x7E4A14F9, 0x0006153B
.long 0x7E74ACF9, 0x00040627
.long 0x7E4C14F9, 0x0006143A
.long 0x7E4C14F9, 0x0006153B
.long 0x7E74ACF9, 0x00050627
.long 0x7E4E14F9, 0x0006143A
.long 0x7E4E14F9, 0x0006153B
.long 0xD9BE0000, 0x0000241C
.long 0xBF8C0F73
.long 0x7E74ACF9, 0x0004062A
.long 0x7E5014F9, 0x0006143A
.long 0x7E5014F9, 0x0006153B
.long 0x7E74ACF9, 0x0005062A
.long 0x7E5214F9, 0x0006143A
.long 0x7E5214F9, 0x0006153B
.long 0x7E74ACF9, 0x0004062B
.long 0x7E5414F9, 0x0006143A
.long 0x7E5414F9, 0x0006153B
.long 0x7E74ACF9, 0x0005062B
.long 0x7E5614F9, 0x0006143A
.long 0x7E5614F9, 0x0006153B
.long 0xD9BE0400, 0x0000281C
	;; [unrolled: 14-line block ×4, first 2 shown]
.long 0xBF8C0F70
.long 0xD89A0000, 0x0000341D
.long 0xD3CD8004, 0x04122D02
.long 0xBF8CC97F
.long 0xD1ED0000, 0x011E0D0A
.long 0xD1ED0001, 0x011E1D12
.long 0xD1ED0002, 0x01220D0A
.long 0xD1ED0003, 0x01221D12
.long 0xD3CD8000, 0x04023100
.long 0xD3CD8004, 0x04123102
.long 0xBF8CC07F
.long 0xBF8A0000
	;; [unrolled: 1-line block ×3, first 2 shown]
.long 0xD1ED0000, 0x011E0F0B
.long 0xD1ED0001, 0x011E1F13
	;; [unrolled: 1-line block ×11, first 2 shown]
.long 0xBF068132
.long 0xBF8400A9
	;; [unrolled: 1-line block ×6, first 2 shown]
.long 0x864A1CFF, 0x0000007F
.long 0x804B14C1
.long 0xBF094B02
	;; [unrolled: 1-line block ×15, first 2 shown]
.long 0xD1ED0000, 0x011E0908
.long 0xD1ED0001, 0x011E1910
	;; [unrolled: 1-line block ×19, first 2 shown]
.long 0xBF8CC07F
.long 0xBF8A0000
.long 0xBF8CC87F
.long 0xD1ED0000, 0x011E0B09
.long 0xD1ED0001, 0x011E1B11
	;; [unrolled: 1-line block ×6, first 2 shown]
.long 0xBF8CC47F
.long 0xD1ED0000, 0x011E0D0A
.long 0xD1ED0001, 0x011E1D12
	;; [unrolled: 1-line block ×6, first 2 shown]
.long 0xBF8CC07F
.long 0xD1ED0000, 0x011E0F0B
.long 0xD1ED0001, 0x011E1F13
	;; [unrolled: 1-line block ×7, first 2 shown]
.long 0x20087086
.long 0x20020882
.long 0xD2850001, 0x00020290
.long 0x260A708F
.long 0xD1FE0001, 0x02020305
.long 0xD2850002, 0x00005501
	;; [unrolled: 1-line block ×3, first 2 shown]
.long 0x260A0883
.long 0xD2850005, 0x00020A90
.long 0x260070BF
.long 0x20000084
	;; [unrolled: 1-line block ×3, first 2 shown]
.long 0xD1FE0000, 0x02060105
.long 0x923302FF, 0x00000080
.long 0x68000033
.long 0x92330390
	;; [unrolled: 1-line block ×4, first 2 shown]
.long 0xD1FE0006, 0x02060103
.long 0xD3D84008, 0x18000100
	;; [unrolled: 1-line block ×9, first 2 shown]
.long 0xBF800001
.long 0xBF800000
	;; [unrolled: 1-line block ×4, first 2 shown]
.long 0xD2A00008, 0x00021308
.long 0x7E14150A
.long 0x7E16150B
.long 0xD2A00009, 0x0002170A
.long 0x7E18150C
.long 0x7E1A150D
	;; [unrolled: 3-line block ×3, first 2 shown]
.long 0xD2A0000B, 0x00021F0E
.long 0xE07CD000, 0x80030806
.long 0xBF800000
.long 0xBF800000
	;; [unrolled: 1-line block ×5, first 2 shown]
.long 0xD1ED0000, 0x011E0908
.long 0xD1ED0001, 0x011E1910
	;; [unrolled: 1-line block ×19, first 2 shown]
.long 0xBF8CC07F
.long 0xBF8A0000
	;; [unrolled: 1-line block ×3, first 2 shown]
.long 0xD1ED0000, 0x011E0B09
.long 0xD1ED0001, 0x011E1B11
.long 0xD1ED0002, 0x01220B09
.long 0xD1ED0003, 0x01221B11
.long 0xD3CD8000, 0x04022D00
.long 0xD3CD8004, 0x04122D02
.long 0xBF8CC47F
.long 0xD1ED0000, 0x011E0D0A
.long 0xD1ED0001, 0x011E1D12
.long 0xD1ED0002, 0x01220D0A
.long 0xD1ED0003, 0x01221D12
.long 0xD3CD8000, 0x04023100
.long 0xD3CD8004, 0x04123102
.long 0xBF8CC07F
	;; [unrolled: 7-line block ×3, first 2 shown]
.long 0xBF070706
.long 0xBE8A0280
	;; [unrolled: 1-line block ×27, first 2 shown]
.long 0xE0801000, 0x800D261E
.long 0xE0801001, 0x800D001E
.long 0xE0841002, 0x800D011E
.long 0xE0841003, 0x800D021E
.long 0xE0801004, 0x800D271E
.long 0xE0801005, 0x800D041E
.long 0xE0841006, 0x800D051E
.long 0xE0841007, 0x800D061E
.long 0xBF8C0F76
.long 0x24000088
.long 0x284C0126
.long 0xBF8C0F75
.long 0x284C0326
.long 0xBF8C0F74
.long 0x24040488
.long 0x284C0526
.long 0xBF8C0F72
.long 0x24080888
.long 0x284E0927
.long 0xBF8C0F71
.long 0x284E0B27
.long 0xBF8C0F70
.long 0x240C0C88
.long 0x284E0D27
.long 0xE0801000, 0x800D2A1F
.long 0xE0801001, 0x800D001F
.long 0xE0841002, 0x800D011F
.long 0xE0841003, 0x800D021F
.long 0xE0801004, 0x800D2B1F
.long 0xE0801005, 0x800D041F
.long 0xE0841006, 0x800D051F
.long 0xE0841007, 0x800D061F
.long 0xBF8C0F76
.long 0x24000088
.long 0x2854012A
.long 0xBF8C0F75
.long 0x2854032A
.long 0xBF8C0F74
.long 0x24040488
.long 0x2854052A
.long 0xBF8C0F72
.long 0x24080888
.long 0x2856092B
.long 0xBF8C0F71
.long 0x28560B2B
.long 0xBF8C0F70
.long 0x240C0C88
.long 0x28560D2B
	;; [unrolled: 24-line block ×4, first 2 shown]
.long 0xE0901000, 0x800E3422
.long 0xE0941002, 0x800E0022
.long 0xBF8C0F70
.long 0x28680134
.long 0xE0901004, 0x800E3522
.long 0xE0941006, 0x800E0022
.long 0xBF8C0F70
.long 0x286A0135
	;; [unrolled: 1-line block ×4, first 2 shown]
.long 0x7E00ACF9, 0x00040626
.long 0x7E4814F9, 0x00061400
	;; [unrolled: 1-line block ×53, first 2 shown]
.long 0x260270BF
.long 0x2600028F
	;; [unrolled: 1-line block ×27, first 2 shown]
.long 0xBE8500FF, 0x00000080
.long 0xD2850002, 0x00020405
.long 0xD1FE0036, 0x02060102
.long 0x20066C8B
.long 0x24060686
	;; [unrolled: 1-line block ×5, first 2 shown]
.long 0xD2850000, 0x00020005
.long 0xD1FE0037, 0x02060300
.long 0x20046E87
.long 0x24040485
	;; [unrolled: 1-line block ×3, first 2 shown]
.long 0x326E6EFF, 0x00004200
.long 0xBF8CC07F
.long 0xBF8A0000
.long 0xD86C0000, 0x04000036
.long 0xD86C0100, 0x08000036
	;; [unrolled: 1-line block ×6, first 2 shown]
.long 0x326C6C05
.long 0xBE8500A0
.long 0x326E6E05
.long 0xBF8CC07F
.long 0xD1ED0000, 0x011E0908
.long 0xD1ED0001, 0x011E1910
	;; [unrolled: 1-line block ×4, first 2 shown]
.long 0x263870BF
.long 0x20383884
	;; [unrolled: 1-line block ×3, first 2 shown]
.long 0xD0C6004A, 0x0000151C
.long 0xD1000000, 0x01290100
	;; [unrolled: 1-line block ×7, first 2 shown]
.long 0x6A38380A
.long 0xD0C1004A, 0x0001091C
.long 0x8649830A
.long 0x80C94984
	;; [unrolled: 1-line block ×3, first 2 shown]
.long 0xD28F001E, 0x00020049
.long 0xD1000000, 0x012A3D00
	;; [unrolled: 1-line block ×9, first 2 shown]
.long 0xBF800001
.long 0xD3CD8000, 0x04022900
.long 0xD3CD8004, 0x04122902
.long 0x818A900A
.long 0x800B900B
	;; [unrolled: 1-line block ×4, first 2 shown]
.long 0xC00A0D00, 0x0000005C
.long 0x7E060202
.long 0x0C0606FF, 0xFFFFFF80
.long 0x3206061C
.long 0x7E0802FF, 0x00000080
.long 0xD0C9003C, 0x00020903
	;; [unrolled: 1-line block ×3, first 2 shown]
.long 0x200A7086
.long 0x260A0A83
.long 0x200C0685
.long 0x260C0C83
.long 0xD0CA003C, 0x00020B06
.long 0xD1000003, 0x00F20704
.long 0x20080685
.long 0x240C0A80
.long 0x6A080D04
.long 0x200C0683
.long 0x200E7084
.long 0x260E0E83
.long 0x240E0E83
.long 0x200E0E83
.long 0x240A0A82
.long 0x320E0F05
.long 0x6A0C0F06
.long 0x260A0687
.long 0x200A0A83
.long 0x260E0687
.long 0xD0CA006A, 0x00010307
.long 0xBF870013
.long 0xD0CA006A, 0x00010507
.long 0xBF870013
	;; [unrolled: 2-line block ×7, first 2 shown]
.long 0xBF8200D9
.long 0xD0CA006A, 0x00010104
.long 0xBF870012
.long 0xD0CA006A, 0x00010104
	;; [unrolled: 2-line block ×14, first 2 shown]
.long 0xBF87008A
.long 0xBEBC0080
.long 0xD0DA003C, 0x00007906
.long 0x260070BF
.long 0x24000082
.long 0xD3D84007, 0x18000107
.long 0xBF800001
.long 0xD3D94000, 0x18000107
.long 0xBEBC01C1
.long 0xBEEA213C
.long 0xBF8200A2
.long 0xBEBC0080
.long 0xD0DA003C, 0x00007906
.long 0x260070BF
.long 0x24000082
.long 0xD3D84007, 0x18000103
.long 0xD3D84008, 0x18000107
.long 0xBF800001
.long 0xD3D94000, 0x18000107
.long 0xD3D94004, 0x18000108
.long 0xBEBC01C1
.long 0xBEEA213C
.long 0xBF820091
.long 0xBEBC0080
.long 0xD0DA003C, 0x00007906
.long 0x260070BF
.long 0x24000082
.long 0xD3D84007, 0x18000106
.long 0xD3D84008, 0x18000103
	;; [unrolled: 1-line block ×3, first 2 shown]
.long 0xBF800001
.long 0xD3D94000, 0x18000107
.long 0xD3D94004, 0x18000108
	;; [unrolled: 1-line block ×3, first 2 shown]
.long 0xBEBC01C1
.long 0xBEEA213C
	;; [unrolled: 1-line block ×4, first 2 shown]
.long 0xD0DA003C, 0x00007906
.long 0x260070BF
.long 0x24000082
.long 0xD3D84007, 0x18000102
.long 0xD3D84008, 0x18000106
	;; [unrolled: 1-line block ×4, first 2 shown]
.long 0xBF800001
.long 0xD3D94000, 0x18000107
.long 0xD3D94004, 0x18000108
	;; [unrolled: 1-line block ×4, first 2 shown]
.long 0xBEBC01C1
.long 0xBEEA213C
	;; [unrolled: 1-line block ×4, first 2 shown]
.long 0xD0DA003C, 0x00007906
.long 0x260070BF
.long 0x24000082
.long 0xD3D84007, 0x18000105
.long 0xD3D84008, 0x18000102
	;; [unrolled: 1-line block ×5, first 2 shown]
.long 0xBF800001
.long 0xD3D94000, 0x18000107
.long 0xD3D94004, 0x18000108
	;; [unrolled: 1-line block ×5, first 2 shown]
.long 0xBEBC01C1
.long 0xBEEA213C
	;; [unrolled: 1-line block ×4, first 2 shown]
.long 0xD0DA003C, 0x00007906
.long 0x260070BF
.long 0x24000082
.long 0xD3D84007, 0x18000101
.long 0xD3D84008, 0x18000105
	;; [unrolled: 1-line block ×6, first 2 shown]
.long 0xBF800001
.long 0xD3D94000, 0x18000107
.long 0xD3D94004, 0x18000108
	;; [unrolled: 1-line block ×6, first 2 shown]
.long 0xBEBC01C1
.long 0xBEEA213C
	;; [unrolled: 1-line block ×4, first 2 shown]
.long 0xD0DA003C, 0x00007906
.long 0x260070BF
.long 0x24000082
.long 0xD3D84007, 0x18000104
.long 0xD3D84008, 0x18000101
	;; [unrolled: 1-line block ×7, first 2 shown]
.long 0xBF800001
.long 0xD3D94000, 0x18000107
.long 0xD3D94004, 0x18000108
	;; [unrolled: 1-line block ×7, first 2 shown]
.long 0xBEBC01C1
.long 0xBEEA213C
	;; [unrolled: 1-line block ×5, first 2 shown]
.long 0xD2850001, 0x00020290
.long 0x260A708F
.long 0xD1FE0001, 0x02020305
.long 0xD2850002, 0x00005501
	;; [unrolled: 1-line block ×3, first 2 shown]
.long 0x260A0883
.long 0xD2850005, 0x00020A90
.long 0x260070BF
.long 0x20000084
	;; [unrolled: 1-line block ×3, first 2 shown]
.long 0xD1FE0000, 0x02060105
.long 0x923302FF, 0x00000080
.long 0x68000033
.long 0x92330390
	;; [unrolled: 1-line block ×7, first 2 shown]
.long 0x813E84FF, 0x0000BFD8
.long 0x803C3E3C
.long 0x823D803D
	;; [unrolled: 1-line block ×3, first 2 shown]
.long 0xBEBB00FF, 0x00020000
.long 0xBEBA00FF, 0x80000000
.long 0x92330390
.long 0x963D2A33
	;; [unrolled: 1-line block ×13, first 2 shown]
.long 0x863C1CFF, 0x0000007F
.long 0x803D14C1
.long 0xBF093D02
	;; [unrolled: 1-line block ×11, first 2 shown]
.long 0xD1FE0006, 0x020A0103
.long 0xD1FE0007, 0x02060103
	;; [unrolled: 1-line block ×10, first 2 shown]
.long 0xBF800001
.long 0xE07CD000, 0x80031006
.long 0xE07CD010, 0x80031406
.long 0xBF800000
.long 0x923F1415
	;; [unrolled: 1-line block ×16, first 2 shown]
.long 0xC2330CCC, 0x00000000
.long 0x9645811C
.long 0x9244811C
	;; [unrolled: 1-line block ×15, first 2 shown]
.long 0x7E1202FF, 0x80000000
.long 0xBEC40016
.long 0xBEC50017
	;; [unrolled: 1-line block ×9, first 2 shown]
.long 0xD2850001, 0x00020290
.long 0x260A70BF
.long 0x200A0A83
	;; [unrolled: 1-line block ×3, first 2 shown]
.long 0xD2850002, 0x00005501
.long 0xD2850003, 0x00005101
.long 0x260A0883
.long 0xD2850005, 0x00020AA0
.long 0x26007087
.long 0x24000082
	;; [unrolled: 1-line block ×3, first 2 shown]
.long 0x923302FF, 0x00000080
.long 0x68000033
.long 0x92330390
	;; [unrolled: 1-line block ×3, first 2 shown]
.long 0xD1FE0006, 0x020A0103
.long 0xD1FE0007, 0x02060103
	;; [unrolled: 1-line block ×3, first 2 shown]
.long 0x68100D08
.long 0xE05CD000, 0x80111006
.long 0xE05CD000, 0x80111408
.long 0xBE850032
.long 0x81858105
	;; [unrolled: 1-line block ×6, first 2 shown]
.long 0xE05CD000, 0x80116806
.long 0xE05CD000, 0x80116C08
.long 0x81858105
.long 0x80444044
.long 0x82454145
.long 0xBF008005
.long 0xBF850598
.long 0xE05CD000, 0x80117006
.long 0xE05CD000, 0x80117408
.long 0x81858105
.long 0x80444044
.long 0x82454145
.long 0xBF008005
.long 0xBF85057C
	;; [unrolled: 7-line block ×14, first 2 shown]
.long 0xE05CD000, 0x8011D806
.long 0xE05CD000, 0x8011DC08
.long 0xBF8C4F7C
.long 0xD3B24010, 0x1802D110
.long 0xD3B24012, 0x1802D512
.long 0xD3B24014, 0x1802D914
.long 0xD3B24016, 0x1802DD16
.long 0x81858105
.long 0xBF05CE05
.long 0xBF85051D
.long 0x80444044
.long 0x82454145
.long 0xD0C60042, 0x00000A80
.long 0xD100000A, 0x010A1306
.long 0xD100000B, 0x010A1308
.long 0xE05CD000, 0x8011680A
.long 0xE05CD000, 0x80116C0B
.long 0xBF8C4F7C
.long 0xD3B24010, 0x1802E110
.long 0xD3B24012, 0x1802E512
.long 0xD3B24014, 0x1802E914
.long 0xD3B24016, 0x1802ED16
.long 0x81858105
.long 0xBF05CE05
.long 0xBF850505
.long 0x80444044
.long 0x82454145
.long 0xD0C60042, 0x00000A80
.long 0xD100000A, 0x010A1306
.long 0xD100000B, 0x010A1308
	;; [unrolled: 15-line block ×15, first 2 shown]
.long 0xE05CD000, 0x8011D80A
.long 0xE05CD000, 0x8011DC0B
.long 0xBF02CE05
.long 0xBF85FE96
	;; [unrolled: 1-line block ×3, first 2 shown]
.long 0xD3B24010, 0x1802D110
.long 0xD3B24012, 0x1802D512
.long 0xD3B24014, 0x1802D914
.long 0xD3B24016, 0x1802DD16
.long 0xBF8C4F78
.long 0xD3B24010, 0x1802E110
.long 0xD3B24012, 0x1802E512
.long 0xD3B24014, 0x1802E914
.long 0xD3B24016, 0x1802ED16
.long 0xBF8C4F76
	;; [unrolled: 5-line block ×14, first 2 shown]
.long 0xBF8C4F78
.long 0xD3B24010, 0x1802D110
.long 0xD3B24012, 0x1802D512
.long 0xD3B24014, 0x1802D914
.long 0xD3B24016, 0x1802DD16
.long 0xBF8C4F76
.long 0xD3B24010, 0x1802E110
.long 0xD3B24012, 0x1802E512
.long 0xD3B24014, 0x1802E914
.long 0xD3B24016, 0x1802ED16
	;; [unrolled: 5-line block ×13, first 2 shown]
.long 0xBF8202CA
.long 0xBF8C4F76
.long 0xD3B24010, 0x1802D110
.long 0xD3B24012, 0x1802D512
.long 0xD3B24014, 0x1802D914
.long 0xD3B24016, 0x1802DD16
.long 0xBF8C4F74
.long 0xD3B24010, 0x1802E110
.long 0xD3B24012, 0x1802E512
.long 0xD3B24014, 0x1802E914
.long 0xD3B24016, 0x1802ED16
	;; [unrolled: 5-line block ×12, first 2 shown]
.long 0xBF82025D
.long 0xBF8C4F74
.long 0xD3B24010, 0x1802D110
.long 0xD3B24012, 0x1802D512
.long 0xD3B24014, 0x1802D914
.long 0xD3B24016, 0x1802DD16
.long 0xBF8C4F72
.long 0xD3B24010, 0x1802E110
.long 0xD3B24012, 0x1802E512
.long 0xD3B24014, 0x1802E914
.long 0xD3B24016, 0x1802ED16
	;; [unrolled: 5-line block ×11, first 2 shown]
.long 0xBF8201F9
.long 0xBF8C4F72
.long 0xD3B24010, 0x1802D110
.long 0xD3B24012, 0x1802D512
.long 0xD3B24014, 0x1802D914
.long 0xD3B24016, 0x1802DD16
.long 0xBF8C4F70
.long 0xD3B24010, 0x1802E110
.long 0xD3B24012, 0x1802E512
.long 0xD3B24014, 0x1802E914
.long 0xD3B24016, 0x1802ED16
	;; [unrolled: 5-line block ×10, first 2 shown]
.long 0xBF82019E
.long 0xBF8C4F70
.long 0xD3B24010, 0x1802D110
.long 0xD3B24012, 0x1802D512
.long 0xD3B24014, 0x1802D914
.long 0xD3B24016, 0x1802DD16
.long 0xBF8C0F7E
.long 0xD3B24010, 0x1802E110
.long 0xD3B24012, 0x1802E512
.long 0xD3B24014, 0x1802E914
.long 0xD3B24016, 0x1802ED16
	;; [unrolled: 5-line block ×9, first 2 shown]
.long 0xBF82014C
.long 0xBF8C0F7E
.long 0xD3B24010, 0x1802D110
.long 0xD3B24012, 0x1802D512
.long 0xD3B24014, 0x1802D914
.long 0xD3B24016, 0x1802DD16
.long 0xBF8C0F7C
.long 0xD3B24010, 0x1802E110
.long 0xD3B24012, 0x1802E512
.long 0xD3B24014, 0x1802E914
.long 0xD3B24016, 0x1802ED16
	;; [unrolled: 5-line block ×8, first 2 shown]
.long 0xBF820103
.long 0xBF8C0F7C
.long 0xD3B24010, 0x1802D110
.long 0xD3B24012, 0x1802D512
.long 0xD3B24014, 0x1802D914
.long 0xD3B24016, 0x1802DD16
.long 0xBF8C0F7A
.long 0xD3B24010, 0x1802E110
.long 0xD3B24012, 0x1802E512
.long 0xD3B24014, 0x1802E914
.long 0xD3B24016, 0x1802ED16
	;; [unrolled: 5-line block ×7, first 2 shown]
.long 0xBF8200C3
.long 0xBF8C0F7A
.long 0xD3B24010, 0x1802D110
.long 0xD3B24012, 0x1802D512
.long 0xD3B24014, 0x1802D914
.long 0xD3B24016, 0x1802DD16
.long 0xBF8C0F78
.long 0xD3B24010, 0x1802E110
.long 0xD3B24012, 0x1802E512
.long 0xD3B24014, 0x1802E914
.long 0xD3B24016, 0x1802ED16
	;; [unrolled: 5-line block ×6, first 2 shown]
.long 0xBF82008C
.long 0xBF8C0F78
.long 0xD3B24010, 0x1802D110
.long 0xD3B24012, 0x1802D512
.long 0xD3B24014, 0x1802D914
.long 0xD3B24016, 0x1802DD16
.long 0xBF8C0F76
.long 0xD3B24010, 0x1802E110
.long 0xD3B24012, 0x1802E512
.long 0xD3B24014, 0x1802E914
.long 0xD3B24016, 0x1802ED16
	;; [unrolled: 5-line block ×5, first 2 shown]
.long 0xBF82005E
.long 0xBF8C0F76
.long 0xD3B24010, 0x1802D110
.long 0xD3B24012, 0x1802D512
.long 0xD3B24014, 0x1802D914
.long 0xD3B24016, 0x1802DD16
.long 0xBF8C0F74
.long 0xD3B24010, 0x1802E110
.long 0xD3B24012, 0x1802E512
.long 0xD3B24014, 0x1802E914
.long 0xD3B24016, 0x1802ED16
	;; [unrolled: 5-line block ×4, first 2 shown]
.long 0xBF820039
.long 0xBF8C0F74
.long 0xD3B24010, 0x1802D110
.long 0xD3B24012, 0x1802D512
.long 0xD3B24014, 0x1802D914
.long 0xD3B24016, 0x1802DD16
.long 0xBF8C0F72
.long 0xD3B24010, 0x1802E110
.long 0xD3B24012, 0x1802E512
.long 0xD3B24014, 0x1802E914
.long 0xD3B24016, 0x1802ED16
	;; [unrolled: 5-line block ×3, first 2 shown]
.long 0xBF82001D
.long 0xBF8C0F72
.long 0xD3B24010, 0x1802D110
.long 0xD3B24012, 0x1802D512
	;; [unrolled: 1-line block ×4, first 2 shown]
.long 0xBF8C0F70
.long 0xD3B24010, 0x1802E110
.long 0xD3B24012, 0x1802E512
	;; [unrolled: 1-line block ×4, first 2 shown]
.long 0xBF82000A
.long 0xBF8C0F70
.long 0xD3B24010, 0x1802D110
.long 0xD3B24012, 0x1802D512
	;; [unrolled: 1-line block ×4, first 2 shown]
.long 0xBF820000
.long 0x0A202030
	;; [unrolled: 1-line block ×11, first 2 shown]
.long 0xD2A00010, 0x00022310
.long 0x7E241512
.long 0x7E261513
.long 0xD2A00011, 0x00022712
.long 0xE074D000, 0x800E1007
.long 0xD2850008, 0x00005090
.long 0x680E0F08
.long 0x7E281514
	;; [unrolled: 1-line block ×3, first 2 shown]
.long 0xD2A00012, 0x00022B14
.long 0x7E2C1516
.long 0x7E2E1517
.long 0xD2A00013, 0x00022F16
.long 0xE074D000, 0x800E1207
.long 0xBF800000
.long 0xBF800000
	;; [unrolled: 1-line block ×3, first 2 shown]
.long 0x7E3C02FF, 0x80000000
.long 0xD0C9003C, 0x00003900
.long 0xD0C90040, 0x00003B01
.long 0x86C0403C
.long 0xD1FE0006, 0x020A0103
.long 0xD1000006, 0x01020D1E
.long 0xD1FE0007, 0x02060103
.long 0xD1000007, 0x01020F1E
.long 0xD1196A04, 0x00010300
.long 0xD0C9003C, 0x00003904
.long 0xD0C90040, 0x00003B01
.long 0x86C0403C
.long 0xD1FE0009, 0x020A0903
.long 0xD1000009, 0x0102131E
.long 0xD1FE000A, 0x02060903
.long 0xD100000A, 0x0102151E
	;; [unrolled: 8-line block ×8, first 2 shown]
.long 0xD3D84008, 0x18000100
.long 0xD3D8400B, 0x18000104
	;; [unrolled: 1-line block ×8, first 2 shown]
.long 0xBF800001
.long 0xE070D000, 0x80030806
.long 0xE070D000, 0x80030B09
	;; [unrolled: 1-line block ×8, first 2 shown]
.long 0xBF800000
.long 0x92431415
	;; [unrolled: 1-line block ×16, first 2 shown]
.long 0xC2330CCC, 0x00000000
.long 0x9649811C
.long 0x9248811C
.long 0x80CC811D
.long 0x924C814C
.long 0x964B2A4C
.long 0x924A2A4C
.long 0x80484A48
.long 0x82494B49
.long 0x80CC811E
.long 0x924C814C
.long 0x964B2B4C
.long 0x924A2B4C
.long 0x80484A48
.long 0x82494B49
.long 0x8EC48248
.long 0x7E3C02FF, 0x80000000
.long 0xBEC80016
.long 0xBEC90017
	;; [unrolled: 1-line block ×7, first 2 shown]
.long 0xE050D000, 0x80120806
.long 0xBE850032
.long 0x81858105
	;; [unrolled: 1-line block ×6, first 2 shown]
.long 0xE050D000, 0x80123C06
.long 0x81858105
.long 0x80484448
.long 0x82494549
.long 0xBF008005
.long 0xBF8501FF
.long 0xE050D000, 0x80124406
.long 0x81858105
.long 0x80484448
.long 0x82494549
.long 0xBF008005
.long 0xBF8501F3
	;; [unrolled: 6-line block ×15, first 2 shown]
.long 0x80484448
.long 0x82494549
.long 0xD0C60046, 0x00000A80
.long 0xD100001F, 0x011A3D06
.long 0xE050D000, 0x80123C1F
.long 0xBF8C0F7E
.long 0x02108908
.long 0x81858105
.long 0xBF05CE05
.long 0xBF850193
.long 0x80484448
.long 0x82494549
.long 0xD0C60046, 0x00000A80
.long 0xD100001F, 0x011A3D06
.long 0xE050D000, 0x8012441F
.long 0xBF8C0F7E
.long 0x02109908
.long 0x81858105
.long 0xBF05CE05
.long 0xBF850186
	;; [unrolled: 10-line block ×15, first 2 shown]
.long 0x02108908
.long 0xBF8C0F7B
	;; [unrolled: 1-line block ×221, first 2 shown]
.long 0x7E3C02FF, 0x80000000
.long 0xBEC80016
.long 0xBEC90017
	;; [unrolled: 1-line block ×4, first 2 shown]
.long 0xE050D000, 0x80120B09
.long 0xBE850032
.long 0x81858105
	;; [unrolled: 1-line block ×6, first 2 shown]
.long 0xE050D000, 0x80123C09
.long 0x81858105
.long 0x80484448
.long 0x82494549
.long 0xBF008005
.long 0xBF8501FF
.long 0xE050D000, 0x80124409
.long 0x81858105
.long 0x80484448
.long 0x82494549
.long 0xBF008005
.long 0xBF8501F3
	;; [unrolled: 6-line block ×15, first 2 shown]
.long 0x80484448
.long 0x82494549
.long 0xD0C60046, 0x00000A80
.long 0xD100001F, 0x011A3D09
.long 0xE050D000, 0x80123C1F
.long 0xBF8C0F7E
.long 0x0216890B
.long 0x81858105
.long 0xBF05CE05
.long 0xBF850193
.long 0x80484448
.long 0x82494549
.long 0xD0C60046, 0x00000A80
.long 0xD100001F, 0x011A3D09
.long 0xE050D000, 0x8012441F
.long 0xBF8C0F7E
.long 0x0216990B
.long 0x81858105
.long 0xBF05CE05
.long 0xBF850186
	;; [unrolled: 10-line block ×15, first 2 shown]
.long 0x0216890B
.long 0xBF8C0F7B
	;; [unrolled: 1-line block ×221, first 2 shown]
.long 0x7E3C02FF, 0x80000000
.long 0xBEC80016
.long 0xBEC90017
	;; [unrolled: 1-line block ×4, first 2 shown]
.long 0xE050D000, 0x80120E0C
.long 0xBE850032
.long 0x81858105
	;; [unrolled: 1-line block ×6, first 2 shown]
.long 0xE050D000, 0x80123C0C
.long 0x81858105
.long 0x80484448
.long 0x82494549
.long 0xBF008005
.long 0xBF8501FF
.long 0xE050D000, 0x8012440C
.long 0x81858105
.long 0x80484448
.long 0x82494549
.long 0xBF008005
.long 0xBF8501F3
	;; [unrolled: 6-line block ×15, first 2 shown]
.long 0x80484448
.long 0x82494549
.long 0xD0C60046, 0x00000A80
.long 0xD100001F, 0x011A3D0C
.long 0xE050D000, 0x80123C1F
.long 0xBF8C0F7E
.long 0x021C890E
.long 0x81858105
.long 0xBF05CE05
.long 0xBF850193
.long 0x80484448
.long 0x82494549
.long 0xD0C60046, 0x00000A80
.long 0xD100001F, 0x011A3D0C
.long 0xE050D000, 0x8012441F
.long 0xBF8C0F7E
.long 0x021C990E
.long 0x81858105
.long 0xBF05CE05
.long 0xBF850186
	;; [unrolled: 10-line block ×15, first 2 shown]
.long 0x021C890E
.long 0xBF8C0F7B
	;; [unrolled: 1-line block ×221, first 2 shown]
.long 0x7E3C02FF, 0x80000000
.long 0xBEC80016
.long 0xBEC90017
	;; [unrolled: 1-line block ×4, first 2 shown]
.long 0xE050D000, 0x8012110F
.long 0xBE850032
.long 0x81858105
	;; [unrolled: 1-line block ×6, first 2 shown]
.long 0xE050D000, 0x80123C0F
.long 0x81858105
.long 0x80484448
.long 0x82494549
.long 0xBF008005
.long 0xBF8501FF
.long 0xE050D000, 0x8012440F
.long 0x81858105
.long 0x80484448
.long 0x82494549
.long 0xBF008005
.long 0xBF8501F3
	;; [unrolled: 6-line block ×15, first 2 shown]
.long 0x80484448
.long 0x82494549
.long 0xD0C60046, 0x00000A80
.long 0xD100001F, 0x011A3D0F
.long 0xE050D000, 0x80123C1F
.long 0xBF8C0F7E
.long 0x02228911
.long 0x81858105
.long 0xBF05CE05
.long 0xBF850193
.long 0x80484448
.long 0x82494549
.long 0xD0C60046, 0x00000A80
.long 0xD100001F, 0x011A3D0F
.long 0xE050D000, 0x8012441F
.long 0xBF8C0F7E
.long 0x02229911
.long 0x81858105
.long 0xBF05CE05
.long 0xBF850186
	;; [unrolled: 10-line block ×15, first 2 shown]
.long 0x02228911
.long 0xBF8C0F7B
	;; [unrolled: 1-line block ×221, first 2 shown]
.long 0x7E3C02FF, 0x80000000
.long 0xBEC80016
.long 0xBEC90017
	;; [unrolled: 1-line block ×4, first 2 shown]
.long 0xE050D000, 0x80121412
.long 0xBE850032
.long 0x81858105
	;; [unrolled: 1-line block ×6, first 2 shown]
.long 0xE050D000, 0x80123C12
.long 0x81858105
.long 0x80484448
.long 0x82494549
.long 0xBF008005
.long 0xBF8501FF
.long 0xE050D000, 0x80124412
.long 0x81858105
.long 0x80484448
.long 0x82494549
.long 0xBF008005
.long 0xBF8501F3
	;; [unrolled: 6-line block ×15, first 2 shown]
.long 0x80484448
.long 0x82494549
.long 0xD0C60046, 0x00000A80
.long 0xD100001F, 0x011A3D12
.long 0xE050D000, 0x80123C1F
.long 0xBF8C0F7E
.long 0x02288914
.long 0x81858105
.long 0xBF05CE05
.long 0xBF850193
.long 0x80484448
.long 0x82494549
.long 0xD0C60046, 0x00000A80
.long 0xD100001F, 0x011A3D12
.long 0xE050D000, 0x8012441F
.long 0xBF8C0F7E
.long 0x02289914
.long 0x81858105
.long 0xBF05CE05
.long 0xBF850186
	;; [unrolled: 10-line block ×15, first 2 shown]
.long 0x02288914
.long 0xBF8C0F7B
	;; [unrolled: 1-line block ×221, first 2 shown]
.long 0x7E3C02FF, 0x80000000
.long 0xBEC80016
.long 0xBEC90017
	;; [unrolled: 1-line block ×4, first 2 shown]
.long 0xE050D000, 0x80121715
.long 0xBE850032
.long 0x81858105
	;; [unrolled: 1-line block ×6, first 2 shown]
.long 0xE050D000, 0x80123C15
.long 0x81858105
.long 0x80484448
.long 0x82494549
.long 0xBF008005
.long 0xBF8501FF
.long 0xE050D000, 0x80124415
.long 0x81858105
.long 0x80484448
.long 0x82494549
.long 0xBF008005
.long 0xBF8501F3
	;; [unrolled: 6-line block ×15, first 2 shown]
.long 0x80484448
.long 0x82494549
.long 0xD0C60046, 0x00000A80
.long 0xD100001F, 0x011A3D15
.long 0xE050D000, 0x80123C1F
.long 0xBF8C0F7E
.long 0x022E8917
.long 0x81858105
.long 0xBF05CE05
.long 0xBF850193
.long 0x80484448
.long 0x82494549
.long 0xD0C60046, 0x00000A80
.long 0xD100001F, 0x011A3D15
.long 0xE050D000, 0x8012441F
.long 0xBF8C0F7E
.long 0x022E9917
.long 0x81858105
.long 0xBF05CE05
.long 0xBF850186
	;; [unrolled: 10-line block ×15, first 2 shown]
.long 0x022E8917
.long 0xBF8C0F7B
	;; [unrolled: 1-line block ×221, first 2 shown]
.long 0x7E3C02FF, 0x80000000
.long 0xBEC80016
.long 0xBEC90017
	;; [unrolled: 1-line block ×4, first 2 shown]
.long 0xE050D000, 0x80121A18
.long 0xBE850032
.long 0x81858105
.long 0x80484448
.long 0x82494549
.long 0xBF008005
.long 0xBF850209
.long 0xE050D000, 0x80123C18
.long 0x81858105
.long 0x80484448
.long 0x82494549
.long 0xBF008005
.long 0xBF8501FF
.long 0xE050D000, 0x80124418
.long 0x81858105
.long 0x80484448
.long 0x82494549
.long 0xBF008005
.long 0xBF8501F3
	;; [unrolled: 6-line block ×15, first 2 shown]
.long 0x80484448
.long 0x82494549
.long 0xD0C60046, 0x00000A80
.long 0xD100001F, 0x011A3D18
.long 0xE050D000, 0x80123C1F
.long 0xBF8C0F7E
.long 0x0234891A
.long 0x81858105
.long 0xBF05CE05
.long 0xBF850193
.long 0x80484448
.long 0x82494549
.long 0xD0C60046, 0x00000A80
.long 0xD100001F, 0x011A3D18
.long 0xE050D000, 0x8012441F
.long 0xBF8C0F7E
.long 0x0234991A
.long 0x81858105
.long 0xBF05CE05
.long 0xBF850186
.long 0x80484448
.long 0x82494549
.long 0xD0C60046, 0x00000A80
.long 0xD100001F, 0x011A3D18
.long 0xE050D000, 0x80124C1F
.long 0xBF8C0F7E
.long 0x0234A91A
.long 0x81858105
.long 0xBF05CE05
.long 0xBF850179
.long 0x80484448
.long 0x82494549
.long 0xD0C60046, 0x00000A80
.long 0xD100001F, 0x011A3D18
.long 0xE050D000, 0x8012541F
.long 0xBF8C0F7E
.long 0x0234B91A
.long 0x81858105
.long 0xBF05CE05
.long 0xBF85016C
.long 0x80484448
.long 0x82494549
.long 0xD0C60046, 0x00000A80
.long 0xD100001F, 0x011A3D18
.long 0xE050D000, 0x80125C1F
.long 0xBF8C0F7E
.long 0x0234C91A
.long 0x81858105
.long 0xBF05CE05
.long 0xBF85015F
.long 0x80484448
.long 0x82494549
.long 0xD0C60046, 0x00000A80
.long 0xD100001F, 0x011A3D18
.long 0xE050D000, 0x8012641F
.long 0xBF8C0F7E
.long 0x0234D91A
.long 0x81858105
.long 0xBF05CE05
.long 0xBF850152
.long 0x80484448
.long 0x82494549
.long 0xD0C60046, 0x00000A80
.long 0xD100001F, 0x011A3D18
.long 0xE050D000, 0x80126C1F
.long 0xBF8C0F7E
.long 0x0234E91A
.long 0x81858105
.long 0xBF05CE05
.long 0xBF850145
.long 0x80484448
.long 0x82494549
.long 0xD0C60046, 0x00000A80
.long 0xD100001F, 0x011A3D18
.long 0xE050D000, 0x8012741F
.long 0xBF8C0F7E
.long 0x0234F91A
.long 0x81858105
.long 0xBF05CE05
.long 0xBF850138
.long 0x80484448
.long 0x82494549
.long 0xD0C60046, 0x00000A80
.long 0xD100001F, 0x011A3D18
.long 0xE050D000, 0x80127C1F
.long 0xBF8C0F7E
.long 0x0235091A
.long 0x81858105
.long 0xBF05CE05
.long 0xBF85012B
.long 0x80484448
.long 0x82494549
.long 0xD0C60046, 0x00000A80
.long 0xD100001F, 0x011A3D18
.long 0xE050D000, 0x8012841F
.long 0xBF8C0F7E
.long 0x0235191A
.long 0x81858105
.long 0xBF05CE05
.long 0xBF85011E
.long 0x80484448
.long 0x82494549
.long 0xD0C60046, 0x00000A80
.long 0xD100001F, 0x011A3D18
.long 0xE050D000, 0x80128C1F
.long 0xBF8C0F7E
.long 0x0235291A
.long 0x81858105
.long 0xBF05CE05
.long 0xBF850111
.long 0x80484448
.long 0x82494549
.long 0xD0C60046, 0x00000A80
.long 0xD100001F, 0x011A3D18
.long 0xE050D000, 0x8012941F
.long 0xBF8C0F7E
.long 0x0235391A
.long 0x81858105
.long 0xBF05CE05
.long 0xBF850104
.long 0x80484448
.long 0x82494549
.long 0xD0C60046, 0x00000A80
.long 0xD100001F, 0x011A3D18
.long 0xE050D000, 0x80129C1F
.long 0xBF8C0F7E
.long 0x0235491A
.long 0x81858105
.long 0xBF05CE05
.long 0xBF8500F7
.long 0x80484448
.long 0x82494549
.long 0xD0C60046, 0x00000A80
.long 0xD100001F, 0x011A3D18
.long 0xE050D000, 0x8012A41F
.long 0xBF8C0F7E
.long 0x0235591A
.long 0x81858105
.long 0xBF05CE05
.long 0xBF8500EA
.long 0x80484448
.long 0x82494549
.long 0xD0C60046, 0x00000A80
.long 0xD100001F, 0x011A3D18
.long 0xE050D000, 0x8012AC1F
.long 0xBF02CE05
.long 0xBF85FF3B
.long 0xBF8C0F7D
.long 0x0234791A
.long 0xBF8C0F7C
.long 0x0234891A
.long 0xBF8C0F7B
.long 0x0234991A
.long 0xBF8C0F7A
.long 0x0234A91A
.long 0xBF8C0F79
.long 0x0234B91A
.long 0xBF8C0F78
.long 0x0234C91A
.long 0xBF8C0F77
.long 0x0234D91A
.long 0xBF8C0F76
.long 0x0234E91A
.long 0xBF8C0F75
.long 0x0234F91A
.long 0xBF8C0F74
.long 0x0235091A
.long 0xBF8C0F73
.long 0x0235191A
.long 0xBF8C0F72
.long 0x0235291A
.long 0xBF8C0F71
.long 0x0235391A
.long 0xBF8C0F70
.long 0x0235491A
.long 0xBF8200C3
.long 0xBF8C0F7C
.long 0x0234791A
.long 0xBF8C0F7B
.long 0x0234891A
.long 0xBF8C0F7A
.long 0x0234991A
.long 0xBF8C0F79
.long 0x0234A91A
.long 0xBF8C0F78
.long 0x0234B91A
.long 0xBF8C0F77
.long 0x0234C91A
.long 0xBF8C0F76
.long 0x0234D91A
.long 0xBF8C0F75
.long 0x0234E91A
.long 0xBF8C0F74
.long 0x0234F91A
.long 0xBF8C0F73
.long 0x0235091A
.long 0xBF8C0F72
.long 0x0235191A
.long 0xBF8C0F71
.long 0x0235291A
.long 0xBF8C0F70
.long 0x0235391A
.long 0xBF8200A8
.long 0xBF8C0F7B
.long 0x0234791A
.long 0xBF8C0F7A
.long 0x0234891A
.long 0xBF8C0F79
.long 0x0234991A
.long 0xBF8C0F78
.long 0x0234A91A
.long 0xBF8C0F77
.long 0x0234B91A
.long 0xBF8C0F76
.long 0x0234C91A
.long 0xBF8C0F75
.long 0x0234D91A
.long 0xBF8C0F74
.long 0x0234E91A
.long 0xBF8C0F73
.long 0x0234F91A
.long 0xBF8C0F72
.long 0x0235091A
.long 0xBF8C0F71
.long 0x0235191A
.long 0xBF8C0F70
.long 0x0235291A
.long 0xBF82008F
.long 0xBF8C0F7A
.long 0x0234791A
.long 0xBF8C0F79
.long 0x0234891A
.long 0xBF8C0F78
.long 0x0234991A
.long 0xBF8C0F77
.long 0x0234A91A
.long 0xBF8C0F76
.long 0x0234B91A
.long 0xBF8C0F75
.long 0x0234C91A
.long 0xBF8C0F74
.long 0x0234D91A
.long 0xBF8C0F73
.long 0x0234E91A
.long 0xBF8C0F72
.long 0x0234F91A
.long 0xBF8C0F71
.long 0x0235091A
.long 0xBF8C0F70
.long 0x0235191A
.long 0xBF820078
.long 0xBF8C0F79
.long 0x0234791A
.long 0xBF8C0F78
.long 0x0234891A
.long 0xBF8C0F77
.long 0x0234991A
.long 0xBF8C0F76
.long 0x0234A91A
.long 0xBF8C0F75
.long 0x0234B91A
.long 0xBF8C0F74
.long 0x0234C91A
.long 0xBF8C0F73
.long 0x0234D91A
.long 0xBF8C0F72
.long 0x0234E91A
.long 0xBF8C0F71
.long 0x0234F91A
.long 0xBF8C0F70
.long 0x0235091A
.long 0xBF820063
.long 0xBF8C0F78
.long 0x0234791A
.long 0xBF8C0F77
.long 0x0234891A
.long 0xBF8C0F76
.long 0x0234991A
.long 0xBF8C0F75
.long 0x0234A91A
.long 0xBF8C0F74
.long 0x0234B91A
.long 0xBF8C0F73
.long 0x0234C91A
.long 0xBF8C0F72
.long 0x0234D91A
.long 0xBF8C0F71
.long 0x0234E91A
.long 0xBF8C0F70
.long 0x0234F91A
.long 0xBF820050
.long 0xBF8C0F77
.long 0x0234791A
.long 0xBF8C0F76
.long 0x0234891A
.long 0xBF8C0F75
.long 0x0234991A
.long 0xBF8C0F74
.long 0x0234A91A
.long 0xBF8C0F73
.long 0x0234B91A
.long 0xBF8C0F72
.long 0x0234C91A
.long 0xBF8C0F71
.long 0x0234D91A
.long 0xBF8C0F70
.long 0x0234E91A
.long 0xBF82003F
.long 0xBF8C0F76
.long 0x0234791A
.long 0xBF8C0F75
.long 0x0234891A
.long 0xBF8C0F74
.long 0x0234991A
.long 0xBF8C0F73
.long 0x0234A91A
.long 0xBF8C0F72
.long 0x0234B91A
.long 0xBF8C0F71
.long 0x0234C91A
.long 0xBF8C0F70
.long 0x0234D91A
.long 0xBF820030
.long 0xBF8C0F75
.long 0x0234791A
.long 0xBF8C0F74
.long 0x0234891A
.long 0xBF8C0F73
.long 0x0234991A
.long 0xBF8C0F72
.long 0x0234A91A
.long 0xBF8C0F71
.long 0x0234B91A
.long 0xBF8C0F70
.long 0x0234C91A
.long 0xBF820023
.long 0xBF8C0F74
.long 0x0234791A
.long 0xBF8C0F73
.long 0x0234891A
.long 0xBF8C0F72
.long 0x0234991A
.long 0xBF8C0F71
.long 0x0234A91A
.long 0xBF8C0F70
.long 0x0234B91A
.long 0xBF820018
.long 0xBF8C0F73
.long 0x0234791A
.long 0xBF8C0F72
.long 0x0234891A
.long 0xBF8C0F71
.long 0x0234991A
.long 0xBF8C0F70
.long 0x0234A91A
.long 0xBF82000F
.long 0xBF8C0F72
.long 0x0234791A
.long 0xBF8C0F71
.long 0x0234891A
.long 0xBF8C0F70
.long 0x0234991A
.long 0xBF820008
.long 0xBF8C0F71
.long 0x0234791A
.long 0xBF8C0F70
.long 0x0234891A
.long 0xBF820003
.long 0xBF8C0F70
.long 0x0234791A
.long 0xBF820000
.long 0x7E3C02FF, 0x80000000
.long 0xBEC80016
.long 0xBEC90017
	;; [unrolled: 1-line block ×4, first 2 shown]
.long 0xE050D000, 0x80121D1B
.long 0xBE850032
.long 0x81858105
	;; [unrolled: 1-line block ×6, first 2 shown]
.long 0xE050D000, 0x80123C1B
.long 0x81858105
.long 0x80484448
.long 0x82494549
.long 0xBF008005
.long 0xBF8501FF
.long 0xE050D000, 0x8012441B
.long 0x81858105
.long 0x80484448
.long 0x82494549
.long 0xBF008005
.long 0xBF8501F3
	;; [unrolled: 6-line block ×15, first 2 shown]
.long 0x80484448
.long 0x82494549
.long 0xD0C60046, 0x00000A80
.long 0xD100001F, 0x011A3D1B
.long 0xE050D000, 0x80123C1F
.long 0xBF8C0F7E
.long 0x023A891D
.long 0x81858105
.long 0xBF05CE05
.long 0xBF850193
.long 0x80484448
.long 0x82494549
.long 0xD0C60046, 0x00000A80
.long 0xD100001F, 0x011A3D1B
.long 0xE050D000, 0x8012441F
.long 0xBF8C0F7E
.long 0x023A991D
.long 0x81858105
.long 0xBF05CE05
.long 0xBF850186
.long 0x80484448
.long 0x82494549
.long 0xD0C60046, 0x00000A80
.long 0xD100001F, 0x011A3D1B
.long 0xE050D000, 0x80124C1F
.long 0xBF8C0F7E
.long 0x023AA91D
.long 0x81858105
.long 0xBF05CE05
.long 0xBF850179
.long 0x80484448
.long 0x82494549
.long 0xD0C60046, 0x00000A80
.long 0xD100001F, 0x011A3D1B
.long 0xE050D000, 0x8012541F
.long 0xBF8C0F7E
.long 0x023AB91D
.long 0x81858105
.long 0xBF05CE05
.long 0xBF85016C
.long 0x80484448
.long 0x82494549
.long 0xD0C60046, 0x00000A80
.long 0xD100001F, 0x011A3D1B
.long 0xE050D000, 0x80125C1F
.long 0xBF8C0F7E
.long 0x023AC91D
.long 0x81858105
.long 0xBF05CE05
.long 0xBF85015F
.long 0x80484448
.long 0x82494549
.long 0xD0C60046, 0x00000A80
.long 0xD100001F, 0x011A3D1B
.long 0xE050D000, 0x8012641F
.long 0xBF8C0F7E
.long 0x023AD91D
.long 0x81858105
.long 0xBF05CE05
.long 0xBF850152
.long 0x80484448
.long 0x82494549
.long 0xD0C60046, 0x00000A80
.long 0xD100001F, 0x011A3D1B
.long 0xE050D000, 0x80126C1F
.long 0xBF8C0F7E
.long 0x023AE91D
.long 0x81858105
.long 0xBF05CE05
.long 0xBF850145
.long 0x80484448
.long 0x82494549
.long 0xD0C60046, 0x00000A80
.long 0xD100001F, 0x011A3D1B
.long 0xE050D000, 0x8012741F
.long 0xBF8C0F7E
.long 0x023AF91D
.long 0x81858105
.long 0xBF05CE05
.long 0xBF850138
.long 0x80484448
.long 0x82494549
.long 0xD0C60046, 0x00000A80
.long 0xD100001F, 0x011A3D1B
.long 0xE050D000, 0x80127C1F
.long 0xBF8C0F7E
.long 0x023B091D
.long 0x81858105
.long 0xBF05CE05
.long 0xBF85012B
.long 0x80484448
.long 0x82494549
.long 0xD0C60046, 0x00000A80
.long 0xD100001F, 0x011A3D1B
.long 0xE050D000, 0x8012841F
.long 0xBF8C0F7E
.long 0x023B191D
.long 0x81858105
.long 0xBF05CE05
.long 0xBF85011E
.long 0x80484448
.long 0x82494549
.long 0xD0C60046, 0x00000A80
.long 0xD100001F, 0x011A3D1B
.long 0xE050D000, 0x80128C1F
.long 0xBF8C0F7E
.long 0x023B291D
.long 0x81858105
.long 0xBF05CE05
.long 0xBF850111
.long 0x80484448
.long 0x82494549
.long 0xD0C60046, 0x00000A80
.long 0xD100001F, 0x011A3D1B
.long 0xE050D000, 0x8012941F
.long 0xBF8C0F7E
.long 0x023B391D
.long 0x81858105
.long 0xBF05CE05
.long 0xBF850104
.long 0x80484448
.long 0x82494549
.long 0xD0C60046, 0x00000A80
.long 0xD100001F, 0x011A3D1B
.long 0xE050D000, 0x80129C1F
.long 0xBF8C0F7E
.long 0x023B491D
.long 0x81858105
.long 0xBF05CE05
.long 0xBF8500F7
.long 0x80484448
.long 0x82494549
.long 0xD0C60046, 0x00000A80
.long 0xD100001F, 0x011A3D1B
.long 0xE050D000, 0x8012A41F
.long 0xBF8C0F7E
.long 0x023B591D
.long 0x81858105
.long 0xBF05CE05
.long 0xBF8500EA
.long 0x80484448
.long 0x82494549
.long 0xD0C60046, 0x00000A80
.long 0xD100001F, 0x011A3D1B
.long 0xE050D000, 0x8012AC1F
.long 0xBF02CE05
.long 0xBF85FF3B
.long 0xBF8C0F7D
.long 0x023A791D
.long 0xBF8C0F7C
.long 0x023A891D
.long 0xBF8C0F7B
	;; [unrolled: 1-line block ×230, first 2 shown]
.long 0xE068D000, 0x800E0807
.long 0xBF800000
.long 0x7E16150B
.long 0xE068D000, 0x800E0B0A
.long 0xBF800000
.long 0x7E1C150E
	;; [unrolled: 3-line block ×8, first 2 shown]
.long 0xBF8217F8
.long 0x863C1CFF, 0x0000007F
.long 0x803D14C1
.long 0xBF093D02
	;; [unrolled: 1-line block ×11, first 2 shown]
.long 0xD1FE0008, 0x02060102
.long 0xE05C1000, 0x80041008
	;; [unrolled: 1-line block ×12, first 2 shown]
.long 0xBF800001
.long 0xE07CD000, 0x80031806
.long 0xE07CD010, 0x80031C06
.long 0xBF800000
.long 0x923F1415
	;; [unrolled: 1-line block ×16, first 2 shown]
.long 0xC2330CCC, 0x00000000
.long 0x9645811C
.long 0x9244811C
	;; [unrolled: 1-line block ×15, first 2 shown]
.long 0x7E1202FF, 0x80000000
.long 0xBEC40016
.long 0xBEC50017
	;; [unrolled: 1-line block ×7, first 2 shown]
.long 0xE05CD000, 0x80111806
.long 0xE05CD010, 0x80111C06
.long 0xBE850032
.long 0x81858105
.long 0x80444044
.long 0x82454145
.long 0xBF008005
.long 0xBF85058D
.long 0xE05CD000, 0x80113C06
.long 0xE05CD010, 0x80114006
.long 0x81858105
.long 0x80444044
.long 0x82454145
.long 0xBF008005
.long 0xBF85057A
.long 0xE05CD000, 0x80114406
.long 0xE05CD010, 0x80114806
.long 0x81858105
.long 0x80444044
.long 0x82454145
.long 0xBF008005
.long 0xBF85055E
	;; [unrolled: 7-line block ×14, first 2 shown]
.long 0xE05CD000, 0x8011AC06
.long 0xE05CD010, 0x8011B006
.long 0xBF8C0F7E
.long 0xD3B24018, 0x18027918
.long 0xD3B2401A, 0x18027D1A
.long 0xD3B2401C, 0x1802811C
.long 0xD3B2401E, 0x1802851E
.long 0x81858105
.long 0xBF05CE05
.long 0xBF8504FF
.long 0x80444044
.long 0x82454145
.long 0xD0C60042, 0x00000A80
.long 0xD100000A, 0x010A1306
.long 0xE05CD000, 0x80113C0A
.long 0xE05CD010, 0x8011400A
.long 0xBF8C0F7E
.long 0xD3B24018, 0x18028918
.long 0xD3B2401A, 0x18028D1A
.long 0xD3B2401C, 0x1802911C
.long 0xD3B2401E, 0x1802951E
.long 0x81858105
.long 0xBF05CE05
.long 0xBF8504E9
.long 0x80444044
.long 0x82454145
.long 0xD0C60042, 0x00000A80
.long 0xD100000A, 0x010A1306
	;; [unrolled: 14-line block ×15, first 2 shown]
.long 0xE05CD000, 0x8011AC0A
.long 0xE05CD010, 0x8011B00A
.long 0xBF02CE05
.long 0xBF85FEB4
	;; [unrolled: 1-line block ×3, first 2 shown]
.long 0xD3B24018, 0x18027918
.long 0xD3B2401A, 0x18027D1A
.long 0xD3B2401C, 0x1802811C
.long 0xD3B2401E, 0x1802851E
.long 0xBF8C0F7C
.long 0xD3B24018, 0x18028918
.long 0xD3B2401A, 0x18028D1A
.long 0xD3B2401C, 0x1802911C
.long 0xD3B2401E, 0x1802951E
.long 0xBF8C0F7B
.long 0xD3B24018, 0x18029918
.long 0xD3B2401A, 0x18029D1A
.long 0xD3B2401C, 0x1802A11C
.long 0xD3B2401E, 0x1802A51E
.long 0xBF8C0F7A
.long 0xD3B24018, 0x1802A918
.long 0xD3B2401A, 0x1802AD1A
.long 0xD3B2401C, 0x1802B11C
.long 0xD3B2401E, 0x1802B51E
.long 0xBF8C0F79
.long 0xD3B24018, 0x1802B918
.long 0xD3B2401A, 0x1802BD1A
.long 0xD3B2401C, 0x1802C11C
.long 0xD3B2401E, 0x1802C51E
.long 0xBF8C0F78
.long 0xD3B24018, 0x1802C918
.long 0xD3B2401A, 0x1802CD1A
.long 0xD3B2401C, 0x1802D11C
.long 0xD3B2401E, 0x1802D51E
.long 0xBF8C0F77
.long 0xD3B24018, 0x1802D918
.long 0xD3B2401A, 0x1802DD1A
.long 0xD3B2401C, 0x1802E11C
.long 0xD3B2401E, 0x1802E51E
.long 0xBF8C0F76
.long 0xD3B24018, 0x1802E918
.long 0xD3B2401A, 0x1802ED1A
.long 0xD3B2401C, 0x1802F11C
.long 0xD3B2401E, 0x1802F51E
.long 0xBF8C0F75
.long 0xD3B24018, 0x1802F918
.long 0xD3B2401A, 0x1802FD1A
.long 0xD3B2401C, 0x1803011C
.long 0xD3B2401E, 0x1803051E
.long 0xBF8C0F74
.long 0xD3B24018, 0x18030918
.long 0xD3B2401A, 0x18030D1A
.long 0xD3B2401C, 0x1803111C
.long 0xD3B2401E, 0x1803151E
.long 0xBF8C0F73
.long 0xD3B24018, 0x18031918
.long 0xD3B2401A, 0x18031D1A
.long 0xD3B2401C, 0x1803211C
.long 0xD3B2401E, 0x1803251E
.long 0xBF8C0F72
.long 0xD3B24018, 0x18032918
.long 0xD3B2401A, 0x18032D1A
.long 0xD3B2401C, 0x1803311C
.long 0xD3B2401E, 0x1803351E
.long 0xBF8C0F71
.long 0xD3B24018, 0x18033918
.long 0xD3B2401A, 0x18033D1A
.long 0xD3B2401C, 0x1803411C
.long 0xD3B2401E, 0x1803451E
.long 0xBF8C0F70
.long 0xD3B24018, 0x18034918
.long 0xD3B2401A, 0x18034D1A
.long 0xD3B2401C, 0x1803511C
.long 0xD3B2401E, 0x1803551E
.long 0xBF820340
.long 0xBF8C0F7C
.long 0xD3B24018, 0x18027918
.long 0xD3B2401A, 0x18027D1A
.long 0xD3B2401C, 0x1802811C
.long 0xD3B2401E, 0x1802851E
.long 0xBF8C0F7B
.long 0xD3B24018, 0x18028918
.long 0xD3B2401A, 0x18028D1A
.long 0xD3B2401C, 0x1802911C
.long 0xD3B2401E, 0x1802951E
	;; [unrolled: 5-line block ×13, first 2 shown]
.long 0xBF8202CA
.long 0xBF8C0F7B
.long 0xD3B24018, 0x18027918
.long 0xD3B2401A, 0x18027D1A
.long 0xD3B2401C, 0x1802811C
.long 0xD3B2401E, 0x1802851E
.long 0xBF8C0F7A
.long 0xD3B24018, 0x18028918
.long 0xD3B2401A, 0x18028D1A
.long 0xD3B2401C, 0x1802911C
.long 0xD3B2401E, 0x1802951E
	;; [unrolled: 5-line block ×12, first 2 shown]
.long 0xBF82025D
.long 0xBF8C0F7A
.long 0xD3B24018, 0x18027918
.long 0xD3B2401A, 0x18027D1A
.long 0xD3B2401C, 0x1802811C
.long 0xD3B2401E, 0x1802851E
.long 0xBF8C0F79
.long 0xD3B24018, 0x18028918
.long 0xD3B2401A, 0x18028D1A
.long 0xD3B2401C, 0x1802911C
.long 0xD3B2401E, 0x1802951E
	;; [unrolled: 5-line block ×11, first 2 shown]
.long 0xBF8201F9
.long 0xBF8C0F79
.long 0xD3B24018, 0x18027918
.long 0xD3B2401A, 0x18027D1A
.long 0xD3B2401C, 0x1802811C
.long 0xD3B2401E, 0x1802851E
.long 0xBF8C0F78
.long 0xD3B24018, 0x18028918
.long 0xD3B2401A, 0x18028D1A
.long 0xD3B2401C, 0x1802911C
.long 0xD3B2401E, 0x1802951E
	;; [unrolled: 5-line block ×10, first 2 shown]
.long 0xBF82019E
.long 0xBF8C0F78
.long 0xD3B24018, 0x18027918
.long 0xD3B2401A, 0x18027D1A
.long 0xD3B2401C, 0x1802811C
.long 0xD3B2401E, 0x1802851E
.long 0xBF8C0F77
.long 0xD3B24018, 0x18028918
.long 0xD3B2401A, 0x18028D1A
.long 0xD3B2401C, 0x1802911C
.long 0xD3B2401E, 0x1802951E
	;; [unrolled: 5-line block ×9, first 2 shown]
.long 0xBF82014C
.long 0xBF8C0F77
.long 0xD3B24018, 0x18027918
.long 0xD3B2401A, 0x18027D1A
.long 0xD3B2401C, 0x1802811C
.long 0xD3B2401E, 0x1802851E
.long 0xBF8C0F76
.long 0xD3B24018, 0x18028918
.long 0xD3B2401A, 0x18028D1A
.long 0xD3B2401C, 0x1802911C
.long 0xD3B2401E, 0x1802951E
	;; [unrolled: 5-line block ×8, first 2 shown]
.long 0xBF820103
.long 0xBF8C0F76
.long 0xD3B24018, 0x18027918
.long 0xD3B2401A, 0x18027D1A
.long 0xD3B2401C, 0x1802811C
.long 0xD3B2401E, 0x1802851E
.long 0xBF8C0F75
.long 0xD3B24018, 0x18028918
.long 0xD3B2401A, 0x18028D1A
.long 0xD3B2401C, 0x1802911C
.long 0xD3B2401E, 0x1802951E
	;; [unrolled: 5-line block ×7, first 2 shown]
.long 0xBF8200C3
.long 0xBF8C0F75
.long 0xD3B24018, 0x18027918
.long 0xD3B2401A, 0x18027D1A
.long 0xD3B2401C, 0x1802811C
.long 0xD3B2401E, 0x1802851E
.long 0xBF8C0F74
.long 0xD3B24018, 0x18028918
.long 0xD3B2401A, 0x18028D1A
.long 0xD3B2401C, 0x1802911C
.long 0xD3B2401E, 0x1802951E
	;; [unrolled: 5-line block ×6, first 2 shown]
.long 0xBF82008C
.long 0xBF8C0F74
.long 0xD3B24018, 0x18027918
.long 0xD3B2401A, 0x18027D1A
.long 0xD3B2401C, 0x1802811C
.long 0xD3B2401E, 0x1802851E
.long 0xBF8C0F73
.long 0xD3B24018, 0x18028918
.long 0xD3B2401A, 0x18028D1A
.long 0xD3B2401C, 0x1802911C
.long 0xD3B2401E, 0x1802951E
	;; [unrolled: 5-line block ×5, first 2 shown]
.long 0xBF82005E
.long 0xBF8C0F73
.long 0xD3B24018, 0x18027918
.long 0xD3B2401A, 0x18027D1A
.long 0xD3B2401C, 0x1802811C
.long 0xD3B2401E, 0x1802851E
.long 0xBF8C0F72
.long 0xD3B24018, 0x18028918
.long 0xD3B2401A, 0x18028D1A
.long 0xD3B2401C, 0x1802911C
.long 0xD3B2401E, 0x1802951E
	;; [unrolled: 5-line block ×4, first 2 shown]
.long 0xBF820039
.long 0xBF8C0F72
.long 0xD3B24018, 0x18027918
.long 0xD3B2401A, 0x18027D1A
.long 0xD3B2401C, 0x1802811C
.long 0xD3B2401E, 0x1802851E
.long 0xBF8C0F71
.long 0xD3B24018, 0x18028918
.long 0xD3B2401A, 0x18028D1A
.long 0xD3B2401C, 0x1802911C
.long 0xD3B2401E, 0x1802951E
	;; [unrolled: 5-line block ×3, first 2 shown]
.long 0xBF82001D
.long 0xBF8C0F71
.long 0xD3B24018, 0x18027918
.long 0xD3B2401A, 0x18027D1A
	;; [unrolled: 1-line block ×4, first 2 shown]
.long 0xBF8C0F70
.long 0xD3B24018, 0x18028918
.long 0xD3B2401A, 0x18028D1A
	;; [unrolled: 1-line block ×4, first 2 shown]
.long 0xBF82000A
.long 0xBF8C0F70
.long 0xD3B24018, 0x18027918
.long 0xD3B2401A, 0x18027D1A
	;; [unrolled: 1-line block ×4, first 2 shown]
.long 0xBF820000
.long 0x0A303030
	;; [unrolled: 1-line block ×9, first 2 shown]
.long 0xD3A00018, 0x14622031
.long 0xD3A01019, 0x14662031
	;; [unrolled: 1-line block ×8, first 2 shown]
.long 0x7E301518
.long 0x7E321519
.long 0xD2A00018, 0x00023318
.long 0x7E34151A
.long 0x7E36151B
.long 0xD2A00019, 0x0002371A
	;; [unrolled: 3-line block ×4, first 2 shown]
.long 0xE07CD000, 0x800E1807
.long 0xBF800000
.long 0xBF800000
	;; [unrolled: 1-line block ×3, first 2 shown]
.long 0x7E4C02FF, 0x80000000
.long 0xD0C9003C, 0x00003900
.long 0xD0C90040, 0x00003B01
.long 0x86C0403C
.long 0xD1FE0006, 0x02060102
.long 0xD1000006, 0x01020D26
.long 0xE0901000, 0x80040806
.long 0xD1FE0006, 0x020A0103
.long 0xD1000006, 0x01020D26
.long 0xD1FE0007, 0x02060103
.long 0xD1000007, 0x01020F26
.long 0xD1196A04, 0x00010300
.long 0xD0C9003C, 0x00003904
.long 0xD0C90040, 0x00003B01
.long 0x86C0403C
.long 0xD1FE000A, 0x02060902
.long 0xD100000A, 0x01021526
.long 0xE0941000, 0x80040C0A
.long 0xD1FE000A, 0x020A0903
.long 0xD100000A, 0x01021526
.long 0xD1FE000B, 0x02060903
.long 0xD100000B, 0x01021726
	;; [unrolled: 11-line block ×8, first 2 shown]
.long 0xD3D84009, 0x18000100
.long 0xD3D8400D, 0x18000104
	;; [unrolled: 1-line block ×8, first 2 shown]
.long 0xBF800001
.long 0xE070D000, 0x80030906
.long 0xE070D000, 0x80030D0A
	;; [unrolled: 1-line block ×8, first 2 shown]
.long 0xBF800000
.long 0x92431415
	;; [unrolled: 1-line block ×16, first 2 shown]
.long 0xC2330CCC, 0x00000000
.long 0x9649811C
.long 0x9248811C
	;; [unrolled: 1-line block ×15, first 2 shown]
.long 0x7E4C02FF, 0x80000000
.long 0xBEC80016
.long 0xBEC90017
	;; [unrolled: 1-line block ×7, first 2 shown]
.long 0xE050D000, 0x80120906
.long 0xBE850032
.long 0x81858105
	;; [unrolled: 1-line block ×6, first 2 shown]
.long 0xE050D000, 0x80123C06
.long 0x81858105
.long 0x80484448
.long 0x82494549
.long 0xBF008005
.long 0xBF8501FF
.long 0xE050D000, 0x80124406
.long 0x81858105
.long 0x80484448
.long 0x82494549
.long 0xBF008005
.long 0xBF8501F3
	;; [unrolled: 6-line block ×15, first 2 shown]
.long 0x80484448
.long 0x82494549
.long 0xD0C60046, 0x00000A80
.long 0xD1000027, 0x011A4D06
.long 0xE050D000, 0x80123C27
.long 0xBF8C0F7E
.long 0x02128909
.long 0x81858105
.long 0xBF05CE05
.long 0xBF850193
.long 0x80484448
.long 0x82494549
.long 0xD0C60046, 0x00000A80
.long 0xD1000027, 0x011A4D06
.long 0xE050D000, 0x80124427
.long 0xBF8C0F7E
.long 0x02129909
.long 0x81858105
.long 0xBF05CE05
.long 0xBF850186
	;; [unrolled: 10-line block ×15, first 2 shown]
.long 0x02128909
.long 0xBF8C0F7B
	;; [unrolled: 1-line block ×221, first 2 shown]
.long 0x7E4C02FF, 0x80000000
.long 0xBEC80016
.long 0xBEC90017
	;; [unrolled: 1-line block ×4, first 2 shown]
.long 0xE050D000, 0x80120D0A
.long 0xBE850032
.long 0x81858105
	;; [unrolled: 1-line block ×6, first 2 shown]
.long 0xE050D000, 0x80123C0A
.long 0x81858105
.long 0x80484448
.long 0x82494549
.long 0xBF008005
.long 0xBF8501FF
.long 0xE050D000, 0x8012440A
.long 0x81858105
.long 0x80484448
.long 0x82494549
.long 0xBF008005
.long 0xBF8501F3
	;; [unrolled: 6-line block ×15, first 2 shown]
.long 0x80484448
.long 0x82494549
.long 0xD0C60046, 0x00000A80
.long 0xD1000027, 0x011A4D0A
.long 0xE050D000, 0x80123C27
.long 0xBF8C0F7E
.long 0x021A890D
.long 0x81858105
.long 0xBF05CE05
.long 0xBF850193
.long 0x80484448
.long 0x82494549
.long 0xD0C60046, 0x00000A80
.long 0xD1000027, 0x011A4D0A
.long 0xE050D000, 0x80124427
.long 0xBF8C0F7E
.long 0x021A990D
.long 0x81858105
.long 0xBF05CE05
.long 0xBF850186
.long 0x80484448
.long 0x82494549
.long 0xD0C60046, 0x00000A80
.long 0xD1000027, 0x011A4D0A
.long 0xE050D000, 0x80124C27
.long 0xBF8C0F7E
.long 0x021AA90D
.long 0x81858105
.long 0xBF05CE05
.long 0xBF850179
.long 0x80484448
.long 0x82494549
.long 0xD0C60046, 0x00000A80
.long 0xD1000027, 0x011A4D0A
.long 0xE050D000, 0x80125427
.long 0xBF8C0F7E
.long 0x021AB90D
.long 0x81858105
.long 0xBF05CE05
.long 0xBF85016C
.long 0x80484448
.long 0x82494549
.long 0xD0C60046, 0x00000A80
.long 0xD1000027, 0x011A4D0A
.long 0xE050D000, 0x80125C27
.long 0xBF8C0F7E
.long 0x021AC90D
.long 0x81858105
.long 0xBF05CE05
.long 0xBF85015F
.long 0x80484448
.long 0x82494549
.long 0xD0C60046, 0x00000A80
.long 0xD1000027, 0x011A4D0A
.long 0xE050D000, 0x80126427
.long 0xBF8C0F7E
.long 0x021AD90D
.long 0x81858105
.long 0xBF05CE05
.long 0xBF850152
.long 0x80484448
.long 0x82494549
.long 0xD0C60046, 0x00000A80
.long 0xD1000027, 0x011A4D0A
.long 0xE050D000, 0x80126C27
.long 0xBF8C0F7E
.long 0x021AE90D
.long 0x81858105
.long 0xBF05CE05
.long 0xBF850145
.long 0x80484448
.long 0x82494549
.long 0xD0C60046, 0x00000A80
.long 0xD1000027, 0x011A4D0A
.long 0xE050D000, 0x80127427
.long 0xBF8C0F7E
.long 0x021AF90D
.long 0x81858105
.long 0xBF05CE05
.long 0xBF850138
.long 0x80484448
.long 0x82494549
.long 0xD0C60046, 0x00000A80
.long 0xD1000027, 0x011A4D0A
.long 0xE050D000, 0x80127C27
.long 0xBF8C0F7E
.long 0x021B090D
.long 0x81858105
.long 0xBF05CE05
.long 0xBF85012B
.long 0x80484448
.long 0x82494549
.long 0xD0C60046, 0x00000A80
.long 0xD1000027, 0x011A4D0A
.long 0xE050D000, 0x80128427
.long 0xBF8C0F7E
.long 0x021B190D
.long 0x81858105
.long 0xBF05CE05
.long 0xBF85011E
.long 0x80484448
.long 0x82494549
.long 0xD0C60046, 0x00000A80
.long 0xD1000027, 0x011A4D0A
.long 0xE050D000, 0x80128C27
.long 0xBF8C0F7E
.long 0x021B290D
.long 0x81858105
.long 0xBF05CE05
.long 0xBF850111
.long 0x80484448
.long 0x82494549
.long 0xD0C60046, 0x00000A80
.long 0xD1000027, 0x011A4D0A
.long 0xE050D000, 0x80129427
.long 0xBF8C0F7E
.long 0x021B390D
.long 0x81858105
.long 0xBF05CE05
.long 0xBF850104
.long 0x80484448
.long 0x82494549
.long 0xD0C60046, 0x00000A80
.long 0xD1000027, 0x011A4D0A
.long 0xE050D000, 0x80129C27
.long 0xBF8C0F7E
.long 0x021B490D
.long 0x81858105
.long 0xBF05CE05
.long 0xBF8500F7
.long 0x80484448
.long 0x82494549
.long 0xD0C60046, 0x00000A80
.long 0xD1000027, 0x011A4D0A
.long 0xE050D000, 0x8012A427
.long 0xBF8C0F7E
.long 0x021B590D
.long 0x81858105
.long 0xBF05CE05
.long 0xBF8500EA
.long 0x80484448
.long 0x82494549
.long 0xD0C60046, 0x00000A80
.long 0xD1000027, 0x011A4D0A
.long 0xE050D000, 0x8012AC27
.long 0xBF02CE05
.long 0xBF85FF3B
.long 0xBF8C0F7D
.long 0x021A790D
.long 0xBF8C0F7C
.long 0x021A890D
.long 0xBF8C0F7B
	;; [unrolled: 1-line block ×221, first 2 shown]
.long 0x7E4C02FF, 0x80000000
.long 0xBEC80016
.long 0xBEC90017
	;; [unrolled: 1-line block ×4, first 2 shown]
.long 0xE050D000, 0x8012110E
.long 0xBE850032
.long 0x81858105
	;; [unrolled: 1-line block ×6, first 2 shown]
.long 0xE050D000, 0x80123C0E
.long 0x81858105
.long 0x80484448
.long 0x82494549
.long 0xBF008005
.long 0xBF8501FF
.long 0xE050D000, 0x8012440E
.long 0x81858105
.long 0x80484448
.long 0x82494549
.long 0xBF008005
.long 0xBF8501F3
	;; [unrolled: 6-line block ×15, first 2 shown]
.long 0x80484448
.long 0x82494549
.long 0xD0C60046, 0x00000A80
.long 0xD1000027, 0x011A4D0E
.long 0xE050D000, 0x80123C27
.long 0xBF8C0F7E
.long 0x02228911
.long 0x81858105
.long 0xBF05CE05
.long 0xBF850193
.long 0x80484448
.long 0x82494549
.long 0xD0C60046, 0x00000A80
.long 0xD1000027, 0x011A4D0E
.long 0xE050D000, 0x80124427
.long 0xBF8C0F7E
.long 0x02229911
.long 0x81858105
.long 0xBF05CE05
.long 0xBF850186
.long 0x80484448
.long 0x82494549
.long 0xD0C60046, 0x00000A80
.long 0xD1000027, 0x011A4D0E
.long 0xE050D000, 0x80124C27
.long 0xBF8C0F7E
.long 0x0222A911
.long 0x81858105
.long 0xBF05CE05
.long 0xBF850179
.long 0x80484448
.long 0x82494549
.long 0xD0C60046, 0x00000A80
.long 0xD1000027, 0x011A4D0E
.long 0xE050D000, 0x80125427
.long 0xBF8C0F7E
.long 0x0222B911
.long 0x81858105
.long 0xBF05CE05
.long 0xBF85016C
.long 0x80484448
.long 0x82494549
.long 0xD0C60046, 0x00000A80
.long 0xD1000027, 0x011A4D0E
.long 0xE050D000, 0x80125C27
.long 0xBF8C0F7E
.long 0x0222C911
.long 0x81858105
.long 0xBF05CE05
.long 0xBF85015F
.long 0x80484448
.long 0x82494549
.long 0xD0C60046, 0x00000A80
.long 0xD1000027, 0x011A4D0E
.long 0xE050D000, 0x80126427
.long 0xBF8C0F7E
.long 0x0222D911
.long 0x81858105
.long 0xBF05CE05
.long 0xBF850152
.long 0x80484448
.long 0x82494549
.long 0xD0C60046, 0x00000A80
.long 0xD1000027, 0x011A4D0E
.long 0xE050D000, 0x80126C27
.long 0xBF8C0F7E
.long 0x0222E911
.long 0x81858105
.long 0xBF05CE05
.long 0xBF850145
.long 0x80484448
.long 0x82494549
.long 0xD0C60046, 0x00000A80
.long 0xD1000027, 0x011A4D0E
.long 0xE050D000, 0x80127427
.long 0xBF8C0F7E
.long 0x0222F911
.long 0x81858105
.long 0xBF05CE05
.long 0xBF850138
.long 0x80484448
.long 0x82494549
.long 0xD0C60046, 0x00000A80
.long 0xD1000027, 0x011A4D0E
.long 0xE050D000, 0x80127C27
.long 0xBF8C0F7E
.long 0x02230911
.long 0x81858105
.long 0xBF05CE05
.long 0xBF85012B
.long 0x80484448
.long 0x82494549
.long 0xD0C60046, 0x00000A80
.long 0xD1000027, 0x011A4D0E
.long 0xE050D000, 0x80128427
.long 0xBF8C0F7E
.long 0x02231911
.long 0x81858105
.long 0xBF05CE05
.long 0xBF85011E
.long 0x80484448
.long 0x82494549
.long 0xD0C60046, 0x00000A80
.long 0xD1000027, 0x011A4D0E
.long 0xE050D000, 0x80128C27
.long 0xBF8C0F7E
.long 0x02232911
.long 0x81858105
.long 0xBF05CE05
.long 0xBF850111
.long 0x80484448
.long 0x82494549
.long 0xD0C60046, 0x00000A80
.long 0xD1000027, 0x011A4D0E
.long 0xE050D000, 0x80129427
.long 0xBF8C0F7E
.long 0x02233911
.long 0x81858105
.long 0xBF05CE05
.long 0xBF850104
.long 0x80484448
.long 0x82494549
.long 0xD0C60046, 0x00000A80
.long 0xD1000027, 0x011A4D0E
.long 0xE050D000, 0x80129C27
.long 0xBF8C0F7E
.long 0x02234911
.long 0x81858105
.long 0xBF05CE05
.long 0xBF8500F7
.long 0x80484448
.long 0x82494549
.long 0xD0C60046, 0x00000A80
.long 0xD1000027, 0x011A4D0E
.long 0xE050D000, 0x8012A427
.long 0xBF8C0F7E
.long 0x02235911
.long 0x81858105
.long 0xBF05CE05
.long 0xBF8500EA
.long 0x80484448
.long 0x82494549
.long 0xD0C60046, 0x00000A80
.long 0xD1000027, 0x011A4D0E
.long 0xE050D000, 0x8012AC27
.long 0xBF02CE05
.long 0xBF85FF3B
.long 0xBF8C0F7D
.long 0x02227911
.long 0xBF8C0F7C
.long 0x02228911
.long 0xBF8C0F7B
	;; [unrolled: 1-line block ×221, first 2 shown]
.long 0x7E4C02FF, 0x80000000
.long 0xBEC80016
.long 0xBEC90017
	;; [unrolled: 1-line block ×4, first 2 shown]
.long 0xE050D000, 0x80121512
.long 0xBE850032
.long 0x81858105
	;; [unrolled: 1-line block ×6, first 2 shown]
.long 0xE050D000, 0x80123C12
.long 0x81858105
.long 0x80484448
.long 0x82494549
.long 0xBF008005
.long 0xBF8501FF
.long 0xE050D000, 0x80124412
.long 0x81858105
.long 0x80484448
.long 0x82494549
.long 0xBF008005
.long 0xBF8501F3
	;; [unrolled: 6-line block ×15, first 2 shown]
.long 0x80484448
.long 0x82494549
.long 0xD0C60046, 0x00000A80
.long 0xD1000027, 0x011A4D12
.long 0xE050D000, 0x80123C27
.long 0xBF8C0F7E
.long 0x022A8915
.long 0x81858105
.long 0xBF05CE05
.long 0xBF850193
.long 0x80484448
.long 0x82494549
.long 0xD0C60046, 0x00000A80
.long 0xD1000027, 0x011A4D12
.long 0xE050D000, 0x80124427
.long 0xBF8C0F7E
.long 0x022A9915
.long 0x81858105
.long 0xBF05CE05
.long 0xBF850186
	;; [unrolled: 10-line block ×15, first 2 shown]
.long 0x022A8915
.long 0xBF8C0F7B
	;; [unrolled: 1-line block ×221, first 2 shown]
.long 0x7E4C02FF, 0x80000000
.long 0xBEC80016
.long 0xBEC90017
	;; [unrolled: 1-line block ×4, first 2 shown]
.long 0xE050D000, 0x80121916
.long 0xBE850032
.long 0x81858105
	;; [unrolled: 1-line block ×6, first 2 shown]
.long 0xE050D000, 0x80123C16
.long 0x81858105
.long 0x80484448
.long 0x82494549
.long 0xBF008005
.long 0xBF8501FF
.long 0xE050D000, 0x80124416
.long 0x81858105
.long 0x80484448
.long 0x82494549
.long 0xBF008005
.long 0xBF8501F3
	;; [unrolled: 6-line block ×15, first 2 shown]
.long 0x80484448
.long 0x82494549
.long 0xD0C60046, 0x00000A80
.long 0xD1000027, 0x011A4D16
.long 0xE050D000, 0x80123C27
.long 0xBF8C0F7E
.long 0x02328919
.long 0x81858105
.long 0xBF05CE05
.long 0xBF850193
.long 0x80484448
.long 0x82494549
.long 0xD0C60046, 0x00000A80
.long 0xD1000027, 0x011A4D16
.long 0xE050D000, 0x80124427
.long 0xBF8C0F7E
.long 0x02329919
.long 0x81858105
.long 0xBF05CE05
.long 0xBF850186
	;; [unrolled: 10-line block ×15, first 2 shown]
.long 0x02328919
.long 0xBF8C0F7B
	;; [unrolled: 1-line block ×221, first 2 shown]
.long 0x7E4C02FF, 0x80000000
.long 0xBEC80016
.long 0xBEC90017
	;; [unrolled: 1-line block ×4, first 2 shown]
.long 0xE050D000, 0x80121D1A
.long 0xBE850032
.long 0x81858105
	;; [unrolled: 1-line block ×6, first 2 shown]
.long 0xE050D000, 0x80123C1A
.long 0x81858105
.long 0x80484448
.long 0x82494549
.long 0xBF008005
.long 0xBF8501FF
.long 0xE050D000, 0x8012441A
.long 0x81858105
.long 0x80484448
.long 0x82494549
.long 0xBF008005
.long 0xBF8501F3
	;; [unrolled: 6-line block ×15, first 2 shown]
.long 0x80484448
.long 0x82494549
.long 0xD0C60046, 0x00000A80
.long 0xD1000027, 0x011A4D1A
.long 0xE050D000, 0x80123C27
.long 0xBF8C0F7E
.long 0x023A891D
.long 0x81858105
.long 0xBF05CE05
.long 0xBF850193
.long 0x80484448
.long 0x82494549
.long 0xD0C60046, 0x00000A80
.long 0xD1000027, 0x011A4D1A
.long 0xE050D000, 0x80124427
.long 0xBF8C0F7E
.long 0x023A991D
.long 0x81858105
.long 0xBF05CE05
.long 0xBF850186
	;; [unrolled: 10-line block ×15, first 2 shown]
.long 0x023A891D
.long 0xBF8C0F7B
	;; [unrolled: 1-line block ×221, first 2 shown]
.long 0x7E4C02FF, 0x80000000
.long 0xBEC80016
.long 0xBEC90017
	;; [unrolled: 1-line block ×4, first 2 shown]
.long 0xE050D000, 0x8012211E
.long 0xBE850032
.long 0x81858105
	;; [unrolled: 1-line block ×6, first 2 shown]
.long 0xE050D000, 0x80123C1E
.long 0x81858105
.long 0x80484448
.long 0x82494549
.long 0xBF008005
.long 0xBF8501FF
.long 0xE050D000, 0x8012441E
.long 0x81858105
.long 0x80484448
.long 0x82494549
.long 0xBF008005
.long 0xBF8501F3
	;; [unrolled: 6-line block ×15, first 2 shown]
.long 0x80484448
.long 0x82494549
.long 0xD0C60046, 0x00000A80
.long 0xD1000027, 0x011A4D1E
.long 0xE050D000, 0x80123C27
.long 0xBF8C0F7E
.long 0x02428921
.long 0x81858105
.long 0xBF05CE05
.long 0xBF850193
.long 0x80484448
.long 0x82494549
.long 0xD0C60046, 0x00000A80
.long 0xD1000027, 0x011A4D1E
.long 0xE050D000, 0x80124427
.long 0xBF8C0F7E
.long 0x02429921
.long 0x81858105
.long 0xBF05CE05
.long 0xBF850186
	;; [unrolled: 10-line block ×15, first 2 shown]
.long 0x02428921
.long 0xBF8C0F7B
.long 0x02429921
.long 0xBF8C0F7A
.long 0x0242A921
.long 0xBF8C0F79
.long 0x0242B921
.long 0xBF8C0F78
.long 0x0242C921
.long 0xBF8C0F77
.long 0x0242D921
.long 0xBF8C0F76
.long 0x0242E921
.long 0xBF8C0F75
.long 0x0242F921
.long 0xBF8C0F74
.long 0x02430921
.long 0xBF8C0F73
.long 0x02431921
.long 0xBF8C0F72
.long 0x02432921
.long 0xBF8C0F71
.long 0x02433921
.long 0xBF8C0F70
.long 0x02434921
.long 0xBF8200C3
.long 0xBF8C0F7C
.long 0x02427921
.long 0xBF8C0F7B
.long 0x02428921
.long 0xBF8C0F7A
.long 0x02429921
.long 0xBF8C0F79
.long 0x0242A921
.long 0xBF8C0F78
.long 0x0242B921
.long 0xBF8C0F77
.long 0x0242C921
.long 0xBF8C0F76
.long 0x0242D921
.long 0xBF8C0F75
.long 0x0242E921
.long 0xBF8C0F74
.long 0x0242F921
.long 0xBF8C0F73
.long 0x02430921
.long 0xBF8C0F72
.long 0x02431921
.long 0xBF8C0F71
.long 0x02432921
.long 0xBF8C0F70
.long 0x02433921
.long 0xBF8200A8
.long 0xBF8C0F7B
.long 0x02427921
.long 0xBF8C0F7A
.long 0x02428921
.long 0xBF8C0F79
.long 0x02429921
.long 0xBF8C0F78
.long 0x0242A921
.long 0xBF8C0F77
.long 0x0242B921
.long 0xBF8C0F76
.long 0x0242C921
.long 0xBF8C0F75
.long 0x0242D921
.long 0xBF8C0F74
.long 0x0242E921
.long 0xBF8C0F73
.long 0x0242F921
.long 0xBF8C0F72
.long 0x02430921
.long 0xBF8C0F71
.long 0x02431921
.long 0xBF8C0F70
.long 0x02432921
.long 0xBF82008F
.long 0xBF8C0F7A
.long 0x02427921
.long 0xBF8C0F79
.long 0x02428921
.long 0xBF8C0F78
.long 0x02429921
.long 0xBF8C0F77
.long 0x0242A921
.long 0xBF8C0F76
.long 0x0242B921
.long 0xBF8C0F75
.long 0x0242C921
.long 0xBF8C0F74
.long 0x0242D921
.long 0xBF8C0F73
.long 0x0242E921
.long 0xBF8C0F72
.long 0x0242F921
.long 0xBF8C0F71
.long 0x02430921
.long 0xBF8C0F70
.long 0x02431921
.long 0xBF820078
.long 0xBF8C0F79
.long 0x02427921
.long 0xBF8C0F78
.long 0x02428921
.long 0xBF8C0F77
.long 0x02429921
.long 0xBF8C0F76
.long 0x0242A921
.long 0xBF8C0F75
.long 0x0242B921
.long 0xBF8C0F74
.long 0x0242C921
.long 0xBF8C0F73
.long 0x0242D921
.long 0xBF8C0F72
.long 0x0242E921
.long 0xBF8C0F71
.long 0x0242F921
.long 0xBF8C0F70
.long 0x02430921
.long 0xBF820063
.long 0xBF8C0F78
.long 0x02427921
.long 0xBF8C0F77
.long 0x02428921
.long 0xBF8C0F76
.long 0x02429921
.long 0xBF8C0F75
.long 0x0242A921
.long 0xBF8C0F74
.long 0x0242B921
.long 0xBF8C0F73
.long 0x0242C921
.long 0xBF8C0F72
.long 0x0242D921
.long 0xBF8C0F71
.long 0x0242E921
.long 0xBF8C0F70
.long 0x0242F921
.long 0xBF820050
.long 0xBF8C0F77
.long 0x02427921
.long 0xBF8C0F76
.long 0x02428921
.long 0xBF8C0F75
.long 0x02429921
.long 0xBF8C0F74
.long 0x0242A921
.long 0xBF8C0F73
.long 0x0242B921
.long 0xBF8C0F72
.long 0x0242C921
.long 0xBF8C0F71
.long 0x0242D921
.long 0xBF8C0F70
.long 0x0242E921
.long 0xBF82003F
.long 0xBF8C0F76
.long 0x02427921
.long 0xBF8C0F75
.long 0x02428921
.long 0xBF8C0F74
.long 0x02429921
.long 0xBF8C0F73
.long 0x0242A921
.long 0xBF8C0F72
.long 0x0242B921
.long 0xBF8C0F71
.long 0x0242C921
.long 0xBF8C0F70
.long 0x0242D921
.long 0xBF820030
.long 0xBF8C0F75
.long 0x02427921
.long 0xBF8C0F74
.long 0x02428921
.long 0xBF8C0F73
.long 0x02429921
.long 0xBF8C0F72
.long 0x0242A921
.long 0xBF8C0F71
.long 0x0242B921
.long 0xBF8C0F70
.long 0x0242C921
.long 0xBF820023
.long 0xBF8C0F74
.long 0x02427921
.long 0xBF8C0F73
.long 0x02428921
.long 0xBF8C0F72
.long 0x02429921
.long 0xBF8C0F71
.long 0x0242A921
.long 0xBF8C0F70
.long 0x0242B921
.long 0xBF820018
.long 0xBF8C0F73
.long 0x02427921
.long 0xBF8C0F72
.long 0x02428921
.long 0xBF8C0F71
.long 0x02429921
.long 0xBF8C0F70
.long 0x0242A921
.long 0xBF82000F
.long 0xBF8C0F72
.long 0x02427921
.long 0xBF8C0F71
.long 0x02428921
.long 0xBF8C0F70
.long 0x02429921
.long 0xBF820008
.long 0xBF8C0F71
.long 0x02427921
.long 0xBF8C0F70
.long 0x02428921
.long 0xBF820003
.long 0xBF8C0F70
.long 0x02427921
.long 0xBF820000
.long 0x7E4C02FF, 0x80000000
.long 0xBEC80016
.long 0xBEC90017
	;; [unrolled: 1-line block ×4, first 2 shown]
.long 0xE050D000, 0x80122522
.long 0xBE850032
.long 0x81858105
.long 0x80484448
.long 0x82494549
.long 0xBF008005
.long 0xBF850209
.long 0xE050D000, 0x80123C22
.long 0x81858105
.long 0x80484448
.long 0x82494549
.long 0xBF008005
.long 0xBF8501FF
.long 0xE050D000, 0x80124422
.long 0x81858105
.long 0x80484448
.long 0x82494549
.long 0xBF008005
.long 0xBF8501F3
	;; [unrolled: 6-line block ×15, first 2 shown]
.long 0x80484448
.long 0x82494549
.long 0xD0C60046, 0x00000A80
.long 0xD1000027, 0x011A4D22
.long 0xE050D000, 0x80123C27
.long 0xBF8C0F7E
.long 0x024A8925
.long 0x81858105
.long 0xBF05CE05
.long 0xBF850193
.long 0x80484448
.long 0x82494549
.long 0xD0C60046, 0x00000A80
.long 0xD1000027, 0x011A4D22
.long 0xE050D000, 0x80124427
.long 0xBF8C0F7E
.long 0x024A9925
.long 0x81858105
.long 0xBF05CE05
.long 0xBF850186
	;; [unrolled: 10-line block ×15, first 2 shown]
.long 0x024A8925
.long 0xBF8C0F7B
	;; [unrolled: 1-line block ×230, first 2 shown]
.long 0xD3A00009, 0x14261031
.long 0x7E121509
.long 0xE068D000, 0x800E0907
.long 0xBF800000
	;; [unrolled: 2-line block ×16, first 2 shown]
.long 0xBF800000
.long 0xBF820000
	;; [unrolled: 1-line block ×3, first 2 shown]
.long 0x813E84FF, 0x00000800
.long 0x803C3E3C
.long 0x823D803D
	;; [unrolled: 1-line block ×5, first 2 shown]
.long 0x863C1CFF, 0x0000007F
.long 0x803D14C1
.long 0xBF093D02
	;; [unrolled: 1-line block ×11, first 2 shown]
.long 0xD1FE0006, 0x02060103
.long 0xD3D84008, 0x18000100
	;; [unrolled: 1-line block ×9, first 2 shown]
.long 0xBF800001
.long 0xBF800000
	;; [unrolled: 1-line block ×12, first 2 shown]
.long 0xD2A00008, 0x00021308
.long 0x7E14150A
.long 0x7E16150B
.long 0xD2A00009, 0x0002170A
.long 0x7E18150C
.long 0x7E1A150D
	;; [unrolled: 3-line block ×3, first 2 shown]
.long 0xD2A0000B, 0x00021F0E
.long 0xE07CD000, 0x80030806
.long 0xBF800000
.long 0xBF800000
	;; [unrolled: 1-line block ×3, first 2 shown]
.long 0x7E2C02FF, 0x80000000
.long 0xD0C9003C, 0x00003900
.long 0xD0C90040, 0x00003B01
.long 0x86C0403C
.long 0xD1FE0006, 0x02060103
.long 0xD1000006, 0x01020D16
.long 0xD1196A04, 0x00010300
.long 0xD0C9003C, 0x00003904
.long 0xD0C90040, 0x00003B01
.long 0x86C0403C
.long 0xD1FE0008, 0x02060903
.long 0xD1000008, 0x01021116
	;; [unrolled: 6-line block ×8, first 2 shown]
.long 0xD3D84007, 0x18000100
.long 0xD3D84009, 0x18000104
	;; [unrolled: 1-line block ×8, first 2 shown]
.long 0xBF800001
.long 0xBF800000
	;; [unrolled: 1-line block ×11, first 2 shown]
.long 0xE068D000, 0x80030706
.long 0xBF800000
.long 0x7E121509
.long 0xE068D000, 0x80030908
.long 0xBF800000
.long 0x7E16150B
	;; [unrolled: 3-line block ×8, first 2 shown]
.long 0xBF820128
.long 0x863C1CFF, 0x0000007F
.long 0x803D14C1
.long 0xBF093D02
	;; [unrolled: 1-line block ×11, first 2 shown]
.long 0xD1FE0007, 0x02060102
.long 0xE05C1000, 0x80040807
	;; [unrolled: 1-line block ×11, first 2 shown]
.long 0xBF800001
.long 0xBF800000
.long 0x0A202030
.long 0x0A222230
.long 0x0A242430
.long 0x0A262630
.long 0x0A282830
.long 0x0A2A2A30
.long 0x0A2C2C30
.long 0x0A2E2E30
.long 0xBF8C0F70
.long 0xD3A00010, 0x14421031
.long 0xD3A01011, 0x14461031
	;; [unrolled: 1-line block ×8, first 2 shown]
.long 0x7E201510
.long 0x7E221511
.long 0xD2A00010, 0x00022310
.long 0x7E241512
.long 0x7E261513
.long 0xD2A00011, 0x00022712
	;; [unrolled: 3-line block ×4, first 2 shown]
.long 0xE07CD000, 0x80031006
.long 0xBF800000
.long 0xBF800000
	;; [unrolled: 1-line block ×3, first 2 shown]
.long 0x7E3C02FF, 0x80000000
.long 0xD0C9003C, 0x00003900
.long 0xD0C90040, 0x00003B01
.long 0x86C0403C
.long 0xD1FE0006, 0x02060102
.long 0xD1000006, 0x01020D1E
.long 0xE0901000, 0x80040706
.long 0xD1FE0006, 0x02060103
.long 0xD1000006, 0x01020D1E
.long 0xD1196A04, 0x00010300
.long 0xD0C9003C, 0x00003904
.long 0xD0C90040, 0x00003B01
.long 0x86C0403C
.long 0xD1FE0009, 0x02060902
.long 0xD1000009, 0x0102131E
.long 0xE0941000, 0x80040A09
.long 0xD1FE0009, 0x02060903
.long 0xD1000009, 0x0102131E
	;; [unrolled: 9-line block ×8, first 2 shown]
.long 0xD3D84008, 0x18000100
.long 0xD3D8400B, 0x18000104
	;; [unrolled: 1-line block ×8, first 2 shown]
.long 0xBF800001
.long 0xBF800000
	;; [unrolled: 1-line block ×11, first 2 shown]
.long 0xD3A00008, 0x14220E31
.long 0x7E101508
.long 0xE068D000, 0x80030806
.long 0xBF800000
	;; [unrolled: 2-line block ×16, first 2 shown]
.long 0xBF800000
.long 0xBF820000
	;; [unrolled: 1-line block ×3, first 2 shown]
